;; amdgpu-corpus repo=ROCm/rocFFT kind=compiled arch=gfx906 opt=O3
	.text
	.amdgcn_target "amdgcn-amd-amdhsa--gfx906"
	.amdhsa_code_object_version 6
	.protected	bluestein_single_fwd_len484_dim1_half_op_CI_CI ; -- Begin function bluestein_single_fwd_len484_dim1_half_op_CI_CI
	.globl	bluestein_single_fwd_len484_dim1_half_op_CI_CI
	.p2align	8
	.type	bluestein_single_fwd_len484_dim1_half_op_CI_CI,@function
bluestein_single_fwd_len484_dim1_half_op_CI_CI: ; @bluestein_single_fwd_len484_dim1_half_op_CI_CI
; %bb.0:
	s_load_dwordx4 s[12:15], s[4:5], 0x28
	v_mul_u32_u24_e32 v1, 0x5d2, v0
	v_add_u32_sdwa v18, s6, v1 dst_sel:DWORD dst_unused:UNUSED_PAD src0_sel:DWORD src1_sel:WORD_1
	v_mov_b32_e32 v19, 0
	s_waitcnt lgkmcnt(0)
	v_cmp_gt_u64_e32 vcc, s[12:13], v[18:19]
	s_and_saveexec_b64 s[0:1], vcc
	s_cbranch_execz .LBB0_15
; %bb.1:
	s_load_dwordx4 s[0:3], s[4:5], 0x18
	s_load_dwordx2 s[12:13], s[4:5], 0x0
	v_mov_b32_e32 v2, 44
	v_mul_lo_u16_sdwa v1, v1, v2 dst_sel:DWORD dst_unused:UNUSED_PAD src0_sel:WORD_1 src1_sel:DWORD
	v_sub_u16_e32 v39, v0, v1
	s_waitcnt lgkmcnt(0)
	s_load_dwordx4 s[8:11], s[0:1], 0x0
	v_lshlrev_b32_e32 v31, 2, v39
	global_load_dword v40, v31, s[12:13]
	v_mov_b32_e32 v10, s13
	s_waitcnt lgkmcnt(0)
	v_mad_u64_u32 v[0:1], s[0:1], s10, v18, 0
	v_mad_u64_u32 v[2:3], s[0:1], s8, v39, 0
	s_mul_hi_u32 s6, s8, 0xfffffec1
	s_sub_i32 s6, s6, s8
	v_mad_u64_u32 v[4:5], s[0:1], s11, v18, v[1:2]
	v_mad_u64_u32 v[5:6], s[0:1], s9, v39, v[3:4]
	v_mov_b32_e32 v1, v4
	v_lshlrev_b64 v[0:1], 2, v[0:1]
	v_mov_b32_e32 v6, s15
	v_mov_b32_e32 v3, v5
	v_add_co_u32_e32 v4, vcc, s14, v0
	v_addc_co_u32_e32 v5, vcc, v6, v1, vcc
	v_lshlrev_b64 v[0:1], 2, v[2:3]
	s_mul_i32 s0, s9, 0x79
	s_mul_hi_u32 s1, s8, 0x79
	v_add_co_u32_e32 v0, vcc, v4, v0
	s_add_i32 s1, s1, s0
	s_mul_i32 s0, s8, 0x79
	v_addc_co_u32_e32 v1, vcc, v5, v1, vcc
	s_lshl_b64 s[14:15], s[0:1], 2
	global_load_dword v2, v[0:1], off
	v_mov_b32_e32 v3, s15
	v_add_co_u32_e32 v0, vcc, s14, v0
	v_addc_co_u32_e32 v1, vcc, v1, v3, vcc
	global_load_dword v4, v[0:1], off
	global_load_dword v38, v31, s[12:13] offset:484
	v_add_co_u32_e32 v0, vcc, s14, v0
	v_addc_co_u32_e32 v1, vcc, v1, v3, vcc
	global_load_dword v5, v[0:1], off
	global_load_dword v36, v31, s[12:13] offset:968
	global_load_dword v33, v31, s[12:13] offset:1144
	;; [unrolled: 1-line block ×4, first 2 shown]
	v_add_co_u32_e32 v0, vcc, s14, v0
	v_addc_co_u32_e32 v1, vcc, v1, v3, vcc
	global_load_dword v6, v[0:1], off
	s_mul_i32 s1, s9, 0xfffffec1
	s_mul_i32 s0, s8, 0xfffffec1
	s_add_i32 s1, s6, s1
	s_lshl_b64 s[16:17], s[0:1], 2
	v_mov_b32_e32 v7, s17
	v_add_co_u32_e32 v0, vcc, s16, v0
	v_addc_co_u32_e32 v1, vcc, v1, v7, vcc
	global_load_dword v7, v[0:1], off
	global_load_dword v35, v31, s[12:13] offset:176
	v_add_co_u32_e32 v0, vcc, s14, v0
	v_addc_co_u32_e32 v1, vcc, v1, v3, vcc
	global_load_dword v8, v[0:1], off
	v_add_co_u32_e32 v0, vcc, s14, v0
	v_addc_co_u32_e32 v1, vcc, v1, v3, vcc
	global_load_dword v9, v[0:1], off
	;; [unrolled: 3-line block ×3, first 2 shown]
	global_load_dword v32, v31, s[12:13] offset:1628
	v_add_co_u32_e32 v16, vcc, s12, v31
	v_addc_co_u32_e32 v17, vcc, 0, v10, vcc
	v_cmp_gt_u16_e64 s[0:1], 33, v39
	s_waitcnt vmcnt(14)
	v_lshrrev_b32_e32 v10, 16, v2
	v_mul_f16_sdwa v11, v40, v2 dst_sel:DWORD dst_unused:UNUSED_PAD src0_sel:WORD_1 src1_sel:DWORD
	v_fma_f16 v11, v40, v10, -v11
	v_mul_f16_sdwa v10, v40, v10 dst_sel:DWORD dst_unused:UNUSED_PAD src0_sel:WORD_1 src1_sel:DWORD
	v_fma_f16 v2, v40, v2, v10
	s_waitcnt vmcnt(13)
	v_lshrrev_b32_e32 v12, 16, v4
	s_waitcnt vmcnt(12)
	v_mul_f16_sdwa v13, v38, v4 dst_sel:DWORD dst_unused:UNUSED_PAD src0_sel:WORD_1 src1_sel:DWORD
	v_fma_f16 v10, v38, v12, -v13
	v_mul_f16_sdwa v12, v38, v12 dst_sel:DWORD dst_unused:UNUSED_PAD src0_sel:WORD_1 src1_sel:DWORD
	s_waitcnt vmcnt(11)
	v_lshrrev_b32_e32 v13, 16, v5
	s_waitcnt vmcnt(10)
	v_mul_f16_sdwa v14, v36, v5 dst_sel:DWORD dst_unused:UNUSED_PAD src0_sel:WORD_1 src1_sel:DWORD
	v_fma_f16 v4, v38, v4, v12
	v_mul_f16_sdwa v12, v36, v13 dst_sel:DWORD dst_unused:UNUSED_PAD src0_sel:WORD_1 src1_sel:DWORD
	v_pack_b32_f16 v2, v2, v11
	v_fma_f16 v11, v36, v13, -v14
	v_pack_b32_f16 v4, v4, v10
	v_fma_f16 v5, v36, v5, v12
	ds_write_b32 v31, v4 offset:484
	v_pack_b32_f16 v4, v5, v11
	s_load_dwordx2 s[6:7], s[4:5], 0x38
	s_load_dwordx4 s[8:11], s[2:3], 0x0
	ds_write_b32 v31, v4 offset:968
	s_waitcnt vmcnt(6)
	v_lshrrev_b32_e32 v4, 16, v6
	v_mul_f16_sdwa v5, v37, v4 dst_sel:DWORD dst_unused:UNUSED_PAD src0_sel:WORD_1 src1_sel:DWORD
	v_fma_f16 v5, v37, v6, v5
	v_mul_f16_sdwa v6, v37, v6 dst_sel:DWORD dst_unused:UNUSED_PAD src0_sel:WORD_1 src1_sel:DWORD
	v_fma_f16 v4, v37, v4, -v6
	v_pack_b32_f16 v4, v5, v4
	ds_write_b32 v31, v4 offset:1452
	s_waitcnt vmcnt(5)
	v_lshrrev_b32_e32 v4, 16, v7
	s_waitcnt vmcnt(4)
	v_mul_f16_sdwa v5, v35, v4 dst_sel:DWORD dst_unused:UNUSED_PAD src0_sel:WORD_1 src1_sel:DWORD
	v_mul_f16_sdwa v6, v35, v7 dst_sel:DWORD dst_unused:UNUSED_PAD src0_sel:WORD_1 src1_sel:DWORD
	v_fma_f16 v5, v35, v7, v5
	v_fma_f16 v4, v35, v4, -v6
	v_pack_b32_f16 v4, v5, v4
	ds_write2_b32 v31, v2, v4 offset1:44
	s_waitcnt vmcnt(3)
	v_lshrrev_b32_e32 v2, 16, v8
	v_mul_f16_sdwa v4, v34, v2 dst_sel:DWORD dst_unused:UNUSED_PAD src0_sel:WORD_1 src1_sel:DWORD
	v_mul_f16_sdwa v5, v34, v8 dst_sel:DWORD dst_unused:UNUSED_PAD src0_sel:WORD_1 src1_sel:DWORD
	v_fma_f16 v4, v34, v8, v4
	v_fma_f16 v2, v34, v2, -v5
	v_pack_b32_f16 v2, v4, v2
	ds_write_b32 v31, v2 offset:660
	s_waitcnt vmcnt(2)
	v_lshrrev_b32_e32 v2, 16, v9
	v_mul_f16_sdwa v4, v33, v2 dst_sel:DWORD dst_unused:UNUSED_PAD src0_sel:WORD_1 src1_sel:DWORD
	v_mul_f16_sdwa v5, v33, v9 dst_sel:DWORD dst_unused:UNUSED_PAD src0_sel:WORD_1 src1_sel:DWORD
	v_fma_f16 v4, v33, v9, v4
	v_fma_f16 v2, v33, v2, -v5
	v_pack_b32_f16 v2, v4, v2
	ds_write_b32 v31, v2 offset:1144
	s_waitcnt vmcnt(1)
	v_lshrrev_b32_e32 v2, 16, v3
	s_waitcnt vmcnt(0)
	v_mul_f16_sdwa v4, v32, v2 dst_sel:DWORD dst_unused:UNUSED_PAD src0_sel:WORD_1 src1_sel:DWORD
	v_fma_f16 v4, v32, v3, v4
	v_mul_f16_sdwa v3, v32, v3 dst_sel:DWORD dst_unused:UNUSED_PAD src0_sel:WORD_1 src1_sel:DWORD
	v_fma_f16 v2, v32, v2, -v3
	v_pack_b32_f16 v2, v4, v2
	ds_write_b32 v31, v2 offset:1628
	s_and_saveexec_b64 s[2:3], s[0:1]
	s_cbranch_execz .LBB0_3
; %bb.2:
	v_mov_b32_e32 v2, s17
	v_add_co_u32_e32 v0, vcc, s16, v0
	v_addc_co_u32_e32 v1, vcc, v1, v2, vcc
	global_load_dword v2, v[0:1], off
	global_load_dword v3, v[16:17], off offset:352
	v_mov_b32_e32 v4, s15
	v_add_co_u32_e32 v0, vcc, s14, v0
	v_addc_co_u32_e32 v1, vcc, v1, v4, vcc
	global_load_dword v5, v[0:1], off
	global_load_dword v6, v[16:17], off offset:836
	v_add_co_u32_e32 v0, vcc, s14, v0
	v_addc_co_u32_e32 v1, vcc, v1, v4, vcc
	global_load_dword v7, v[0:1], off
	global_load_dword v8, v[16:17], off offset:1320
	;; [unrolled: 4-line block ×3, first 2 shown]
	s_waitcnt vmcnt(7)
	v_lshrrev_b32_e32 v0, 16, v2
	s_waitcnt vmcnt(6)
	v_mul_f16_sdwa v1, v3, v2 dst_sel:DWORD dst_unused:UNUSED_PAD src0_sel:WORD_1 src1_sel:DWORD
	v_mul_f16_sdwa v10, v3, v0 dst_sel:DWORD dst_unused:UNUSED_PAD src0_sel:WORD_1 src1_sel:DWORD
	v_fma_f16 v0, v3, v0, -v1
	v_fma_f16 v2, v3, v2, v10
	v_pack_b32_f16 v0, v2, v0
	s_waitcnt vmcnt(5)
	v_lshrrev_b32_e32 v1, 16, v5
	s_waitcnt vmcnt(4)
	v_mul_f16_sdwa v11, v6, v5 dst_sel:DWORD dst_unused:UNUSED_PAD src0_sel:WORD_1 src1_sel:DWORD
	v_mul_f16_sdwa v3, v6, v1 dst_sel:DWORD dst_unused:UNUSED_PAD src0_sel:WORD_1 src1_sel:DWORD
	v_fma_f16 v1, v6, v1, -v11
	v_fma_f16 v2, v6, v5, v3
	s_waitcnt vmcnt(3)
	v_lshrrev_b32_e32 v10, 16, v7
	s_waitcnt vmcnt(2)
	v_mul_f16_sdwa v11, v8, v7 dst_sel:DWORD dst_unused:UNUSED_PAD src0_sel:WORD_1 src1_sel:DWORD
	v_mul_f16_sdwa v3, v8, v10 dst_sel:DWORD dst_unused:UNUSED_PAD src0_sel:WORD_1 src1_sel:DWORD
	v_fma_f16 v5, v8, v10, -v11
	v_pack_b32_f16 v1, v2, v1
	s_waitcnt vmcnt(1)
	v_lshrrev_b32_e32 v6, 16, v4
	s_waitcnt vmcnt(0)
	v_mul_f16_sdwa v10, v9, v4 dst_sel:DWORD dst_unused:UNUSED_PAD src0_sel:WORD_1 src1_sel:DWORD
	v_fma_f16 v2, v8, v7, v3
	v_mul_f16_sdwa v3, v9, v6 dst_sel:DWORD dst_unused:UNUSED_PAD src0_sel:WORD_1 src1_sel:DWORD
	v_fma_f16 v6, v9, v6, -v10
	ds_write2_b32 v31, v0, v1 offset0:88 offset1:209
	v_fma_f16 v1, v9, v4, v3
	v_pack_b32_f16 v0, v2, v5
	v_pack_b32_f16 v1, v1, v6
	v_add_u32_e32 v2, 0x400, v31
	ds_write2_b32 v2, v0, v1 offset0:74 offset1:195
.LBB0_3:
	s_or_b64 exec, exec, s[2:3]
	v_add_u32_e32 v0, 0x200, v31
	v_add_u32_e32 v7, 0x400, v31
	s_load_dwordx2 s[2:3], s[4:5], 0x8
	s_waitcnt lgkmcnt(0)
	; wave barrier
	s_waitcnt lgkmcnt(0)
	ds_read2_b32 v[2:3], v31 offset1:44
	ds_read2_b32 v[4:5], v31 offset0:121 offset1:165
	ds_read2_b32 v[8:9], v0 offset0:114 offset1:158
	;; [unrolled: 1-line block ×3, first 2 shown]
                                        ; implicit-def: $vgpr0
                                        ; implicit-def: $vgpr6
	s_and_saveexec_b64 s[4:5], s[0:1]
	s_cbranch_execz .LBB0_5
; %bb.4:
	ds_read2_b32 v[0:1], v31 offset0:88 offset1:209
	ds_read2_b32 v[6:7], v7 offset0:74 offset1:195
.LBB0_5:
	s_or_b64 exec, exec, s[4:5]
	s_waitcnt lgkmcnt(1)
	v_pk_add_f16 v8, v2, v8 neg_lo:[0,1] neg_hi:[0,1]
	s_waitcnt lgkmcnt(0)
	v_pk_add_f16 v10, v4, v10 neg_lo:[0,1] neg_hi:[0,1]
	v_lshrrev_b32_e32 v14, 16, v8
	v_pk_fma_f16 v2, v2, 2.0, v8 op_sel_hi:[1,0,1] neg_lo:[0,0,1] neg_hi:[0,0,1]
	v_pk_fma_f16 v4, v4, 2.0, v10 op_sel_hi:[1,0,1] neg_lo:[0,0,1] neg_hi:[0,0,1]
	v_sub_f16_sdwa v13, v8, v10 dst_sel:DWORD dst_unused:UNUSED_PAD src0_sel:DWORD src1_sel:WORD_1
	v_add_f16_e32 v15, v14, v10
	v_pk_add_f16 v20, v3, v9 neg_lo:[0,1] neg_hi:[0,1]
	v_pk_add_f16 v10, v2, v4 neg_lo:[0,1] neg_hi:[0,1]
	v_fma_f16 v19, v8, 2.0, -v13
	v_pk_add_f16 v21, v5, v11 neg_lo:[0,1] neg_hi:[0,1]
	v_lshrrev_b32_e32 v23, 16, v20
	v_pk_add_f16 v6, v0, v6 neg_lo:[0,1] neg_hi:[0,1]
	v_pk_fma_f16 v8, v2, 2.0, v10 op_sel_hi:[1,0,1] neg_lo:[0,0,1] neg_hi:[0,0,1]
	v_lshlrev_b16_e32 v2, 2, v39
	v_fma_f16 v14, v14, 2.0, -v15
	v_sub_f16_sdwa v22, v20, v21 dst_sel:DWORD dst_unused:UNUSED_PAD src0_sel:DWORD src1_sel:WORD_1
	v_add_f16_e32 v24, v23, v21
	v_pk_add_f16 v7, v1, v7 neg_lo:[0,1] neg_hi:[0,1]
	v_alignbit_b32 v4, s0, v6, 16
	v_lshlrev_b32_e32 v42, 2, v2
	v_pk_fma_f16 v2, v3, 2.0, v20 op_sel_hi:[1,0,1] neg_lo:[0,0,1] neg_hi:[0,0,1]
	v_pk_fma_f16 v3, v5, 2.0, v21 op_sel_hi:[1,0,1] neg_lo:[0,0,1] neg_hi:[0,0,1]
	v_add_co_u32_e32 v12, vcc, 0x58, v39
	v_pack_b32_f16 v11, v13, v15
	v_pack_b32_f16 v9, v19, v14
	v_fma_f16 v13, v20, 2.0, -v22
	v_fma_f16 v14, v23, 2.0, -v24
	v_alignbit_b32 v15, s0, v7, 16
	v_pk_add_f16 v45, v7, v4
	v_pk_add_f16 v4, v2, v3 neg_lo:[0,1] neg_hi:[0,1]
	v_lshlrev_b32_e32 v43, 4, v39
	v_pk_add_f16 v44, v6, v15 neg_lo:[0,1] neg_hi:[0,1]
	v_pk_fma_f16 v2, v2, 2.0, v4 op_sel_hi:[1,0,1] neg_lo:[0,0,1] neg_hi:[0,0,1]
	v_pack_b32_f16 v5, v22, v24
	v_pack_b32_f16 v3, v13, v14
	v_lshlrev_b32_e32 v41, 4, v12
	s_waitcnt lgkmcnt(0)
	; wave barrier
	ds_write_b128 v42, v[8:11]
	ds_write_b128 v43, v[2:5] offset:704
	s_and_saveexec_b64 s[4:5], s[0:1]
	s_cbranch_execz .LBB0_7
; %bb.6:
	v_lshrrev_b32_e32 v2, 16, v6
	v_pk_fma_f16 v0, v0, 2.0, v6 op_sel_hi:[1,0,1] neg_lo:[0,0,1] neg_hi:[0,0,1]
	v_pk_fma_f16 v1, v1, 2.0, v7 op_sel_hi:[1,0,1] neg_lo:[0,0,1] neg_hi:[0,0,1]
	v_fma_f16 v4, v6, 2.0, -v44
	v_fma_f16 v5, v2, 2.0, -v45
	v_pk_add_f16 v2, v0, v1 neg_lo:[0,1] neg_hi:[0,1]
	s_mov_b32 s14, 0x5040100
	v_pk_fma_f16 v0, v0, 2.0, v2 op_sel_hi:[1,0,1] neg_lo:[0,0,1] neg_hi:[0,0,1]
	v_perm_b32 v3, v45, v44, s14
	v_pack_b32_f16 v1, v4, v5
	ds_write_b128 v41, v[0:3]
.LBB0_7:
	s_or_b64 exec, exec, s[4:5]
	v_and_b32_e32 v8, 3, v39
	v_mul_u32_u24_e32 v0, 10, v8
	v_lshlrev_b32_e32 v4, 2, v0
	s_waitcnt lgkmcnt(0)
	; wave barrier
	s_waitcnt lgkmcnt(0)
	global_load_dwordx4 v[0:3], v4, s[2:3]
	global_load_dwordx2 v[19:20], v4, s[2:3] offset:32
	ds_read2_b32 v[9:10], v31 offset1:44
	ds_read2_b32 v[11:12], v31 offset0:88 offset1:132
	ds_read2_b32 v[13:14], v31 offset0:176 offset1:220
	global_load_dwordx4 v[4:7], v4, s[2:3] offset:16
	ds_read_b32 v15, v31 offset:1760
	s_waitcnt lgkmcnt(3)
	v_lshrrev_b32_e32 v23, 16, v10
	s_waitcnt lgkmcnt(2)
	v_lshrrev_b32_e32 v24, 16, v11
	v_lshrrev_b32_e32 v25, 16, v12
	v_add_u32_e32 v29, 0x400, v31
	s_waitcnt lgkmcnt(0)
	v_lshrrev_b32_e32 v28, 16, v15
	s_movk_i32 s14, 0x3abb
	s_movk_i32 s4, 0x36a6
	s_mov_b32 s5, 0xb08e
	s_mov_b32 s16, 0xb93d
	;; [unrolled: 1-line block ×3, first 2 shown]
	ds_read2_b32 v[21:22], v29 offset0:8 offset1:52
	v_lshrrev_b32_e32 v26, 16, v13
	v_lshrrev_b32_e32 v27, 16, v14
	s_mov_b32 s17, 0xbbebbb47
	s_waitcnt lgkmcnt(0)
	v_lshrrev_b32_e32 v30, 16, v21
	s_waitcnt vmcnt(2)
	v_mul_f16_sdwa v46, v23, v0 dst_sel:DWORD dst_unused:UNUSED_PAD src0_sel:DWORD src1_sel:WORD_1
	v_mul_f16_sdwa v47, v10, v0 dst_sel:DWORD dst_unused:UNUSED_PAD src0_sel:DWORD src1_sel:WORD_1
	s_waitcnt vmcnt(1)
	v_mul_f16_sdwa v52, v28, v20 dst_sel:DWORD dst_unused:UNUSED_PAD src0_sel:DWORD src1_sel:WORD_1
	v_mul_f16_sdwa v53, v15, v20 dst_sel:DWORD dst_unused:UNUSED_PAD src0_sel:DWORD src1_sel:WORD_1
	;; [unrolled: 1-line block ×4, first 2 shown]
	v_fma_f16 v10, v10, v0, -v46
	v_fma_f16 v23, v23, v0, v47
	v_fma_f16 v15, v15, v20, -v52
	v_fma_f16 v28, v28, v20, v53
	v_mul_f16_sdwa v50, v25, v2 dst_sel:DWORD dst_unused:UNUSED_PAD src0_sel:DWORD src1_sel:WORD_1
	v_mul_f16_sdwa v51, v12, v2 dst_sel:DWORD dst_unused:UNUSED_PAD src0_sel:DWORD src1_sel:WORD_1
	v_fma_f16 v11, v11, v1, -v48
	v_fma_f16 v24, v24, v1, v49
	v_sub_f16_e32 v48, v10, v15
	v_sub_f16_e32 v49, v23, v28
	v_fma_f16 v12, v12, v2, -v50
	v_fma_f16 v25, v25, v2, v51
	v_add_f16_e32 v46, v10, v15
	v_add_f16_e32 v47, v23, v28
	;; [unrolled: 1-line block ×3, first 2 shown]
	v_mul_f16_e32 v10, 0xb853, v49
	v_mul_f16_e32 v51, 0xb853, v48
	;; [unrolled: 1-line block ×10, first 2 shown]
	v_fma_f16 v58, v46, s14, -v10
	v_fma_f16 v59, v47, s14, v51
	v_fma_f16 v10, v46, s14, v10
	v_fma_f16 v51, v47, s14, -v51
	v_fma_f16 v60, v46, s4, -v52
	v_fma_f16 v61, v47, s4, v53
	v_fma_f16 v52, v46, s4, v52
	v_fma_f16 v53, v47, s4, -v53
	;; [unrolled: 4-line block ×5, first 2 shown]
	v_add_f16_sdwa v23, v9, v23 dst_sel:DWORD dst_unused:UNUSED_PAD src0_sel:WORD_1 src1_sel:DWORD
	v_add_f16_e32 v48, v9, v58
	v_add_f16_sdwa v58, v9, v59 dst_sel:DWORD dst_unused:UNUSED_PAD src0_sel:WORD_1 src1_sel:DWORD
	v_add_f16_e32 v59, v9, v10
	;; [unrolled: 2-line block ×10, first 2 shown]
	v_add_f16_sdwa v47, v9, v47 dst_sel:DWORD dst_unused:UNUSED_PAD src0_sel:WORD_1 src1_sel:DWORD
	v_mul_f16_sdwa v9, v26, v3 dst_sel:DWORD dst_unused:UNUSED_PAD src0_sel:DWORD src1_sel:WORD_1
	v_fma_f16 v67, v13, v3, -v9
	v_mul_f16_sdwa v9, v13, v3 dst_sel:DWORD dst_unused:UNUSED_PAD src0_sel:DWORD src1_sel:WORD_1
	v_fma_f16 v13, v26, v3, v9
	s_waitcnt vmcnt(0)
	v_mul_f16_sdwa v9, v27, v4 dst_sel:DWORD dst_unused:UNUSED_PAD src0_sel:DWORD src1_sel:WORD_1
	v_fma_f16 v26, v14, v4, -v9
	v_mul_f16_sdwa v9, v14, v4 dst_sel:DWORD dst_unused:UNUSED_PAD src0_sel:DWORD src1_sel:WORD_1
	v_fma_f16 v27, v27, v4, v9
	v_mul_f16_sdwa v9, v21, v5 dst_sel:DWORD dst_unused:UNUSED_PAD src0_sel:DWORD src1_sel:WORD_1
	v_fma_f16 v68, v30, v5, v9
	v_mul_f16_sdwa v9, v30, v5 dst_sel:DWORD dst_unused:UNUSED_PAD src0_sel:DWORD src1_sel:WORD_1
	v_fma_f16 v21, v21, v5, -v9
	ds_read2_b32 v[9:10], v29 offset0:96 offset1:140
	v_lshrrev_b32_e32 v14, 16, v22
	v_mul_f16_sdwa v30, v14, v6 dst_sel:DWORD dst_unused:UNUSED_PAD src0_sel:DWORD src1_sel:WORD_1
	v_fma_f16 v30, v22, v6, -v30
	v_mul_f16_sdwa v22, v22, v6 dst_sel:DWORD dst_unused:UNUSED_PAD src0_sel:DWORD src1_sel:WORD_1
	v_fma_f16 v14, v14, v6, v22
	s_waitcnt lgkmcnt(0)
	v_lshrrev_b32_e32 v22, 16, v9
	v_mul_f16_sdwa v69, v9, v7 dst_sel:DWORD dst_unused:UNUSED_PAD src0_sel:DWORD src1_sel:WORD_1
	v_fma_f16 v69, v22, v7, v69
	v_mul_f16_sdwa v22, v22, v7 dst_sel:DWORD dst_unused:UNUSED_PAD src0_sel:DWORD src1_sel:WORD_1
	v_fma_f16 v9, v9, v7, -v22
	v_lshrrev_b32_e32 v22, 16, v10
	v_mul_f16_sdwa v70, v22, v19 dst_sel:DWORD dst_unused:UNUSED_PAD src0_sel:DWORD src1_sel:WORD_1
	v_fma_f16 v70, v10, v19, -v70
	v_mul_f16_sdwa v10, v10, v19 dst_sel:DWORD dst_unused:UNUSED_PAD src0_sel:DWORD src1_sel:WORD_1
	v_fma_f16 v10, v22, v19, v10
	v_add_f16_e32 v22, v50, v11
	v_add_f16_e32 v22, v22, v12
	;; [unrolled: 1-line block ×19, first 2 shown]
	v_sub_f16_e32 v10, v24, v10
	v_add_f16_e32 v23, v11, v70
	v_mul_f16_e32 v24, 0xbb47, v10
	v_sub_f16_e32 v11, v11, v70
	v_fma_f16 v50, v23, s4, -v24
	v_add_f16_e32 v48, v50, v48
	v_mul_f16_e32 v50, 0xbb47, v11
	v_fma_f16 v70, v28, s4, v50
	v_fma_f16 v50, v28, s4, -v50
	v_fma_f16 v24, v23, s4, v24
	v_add_f16_e32 v50, v50, v51
	v_mul_f16_e32 v51, 0xba0c, v10
	v_add_f16_e32 v24, v24, v59
	v_fma_f16 v59, v23, s16, -v51
	v_add_f16_e32 v59, v59, v60
	v_mul_f16_e32 v60, 0xba0c, v11
	v_fma_f16 v51, v23, s16, v51
	v_add_f16_e32 v51, v51, v52
	v_fma_f16 v52, v28, s16, -v60
	v_add_f16_e32 v52, v52, v53
	v_mul_f16_e32 v53, 0x3482, v10
	v_add_f16_e32 v58, v70, v58
	v_fma_f16 v70, v28, s16, v60
	v_fma_f16 v60, v23, s15, -v53
	v_add_f16_e32 v60, v60, v62
	v_mul_f16_e32 v62, 0x3482, v11
	v_fma_f16 v53, v23, s15, v53
	v_add_f16_e32 v53, v53, v54
	v_fma_f16 v54, v28, s15, -v62
	v_add_f16_e32 v54, v54, v55
	v_mul_f16_e32 v55, 0x3beb, v10
	v_add_f16_e32 v61, v70, v61
	v_fma_f16 v70, v28, s15, v62
	v_fma_f16 v62, v23, s5, -v55
	v_add_f16_e32 v62, v62, v64
	v_mul_f16_e32 v64, 0x3beb, v11
	v_fma_f16 v55, v23, s5, v55
	v_add_f16_e32 v55, v55, v56
	v_fma_f16 v56, v28, s5, -v64
	v_mul_f16_e32 v10, 0x3853, v10
	v_add_f16_e32 v56, v56, v57
	v_fma_f16 v57, v23, s14, -v10
	v_mul_f16_e32 v11, 0x3853, v11
	v_fma_f16 v10, v23, s14, v10
	v_add_f16_e32 v23, v12, v9
	v_sub_f16_e32 v9, v12, v9
	v_sub_f16_e32 v12, v25, v69
	v_add_f16_e32 v63, v70, v63
	v_fma_f16 v70, v28, s5, v64
	v_fma_f16 v64, v28, s14, v11
	v_fma_f16 v11, v28, s14, -v11
	v_add_f16_e32 v28, v25, v69
	v_mul_f16_e32 v25, 0xbbeb, v12
	v_add_f16_e32 v10, v10, v46
	v_add_f16_e32 v11, v11, v47
	v_fma_f16 v46, v23, s5, -v25
	v_mul_f16_e32 v47, 0xbbeb, v9
	v_fma_f16 v25, v23, s5, v25
	v_add_f16_e32 v46, v46, v48
	v_fma_f16 v48, v28, s5, v47
	v_add_f16_e32 v24, v25, v24
	v_fma_f16 v25, v28, s5, -v47
	v_mul_f16_e32 v47, 0x3482, v12
	v_add_f16_e32 v48, v48, v58
	v_add_f16_e32 v25, v25, v50
	v_fma_f16 v50, v23, s15, -v47
	v_mul_f16_e32 v58, 0x3482, v9
	v_fma_f16 v47, v23, s15, v47
	v_add_f16_e32 v47, v47, v51
	v_fma_f16 v51, v28, s15, -v58
	v_add_f16_e32 v51, v51, v52
	v_mul_f16_e32 v52, 0x3b47, v12
	v_add_f16_e32 v50, v50, v59
	v_fma_f16 v59, v28, s15, v58
	v_fma_f16 v58, v23, s4, -v52
	v_add_f16_e32 v58, v58, v60
	v_mul_f16_e32 v60, 0x3b47, v9
	v_fma_f16 v52, v23, s4, v52
	v_add_f16_e32 v52, v52, v53
	v_fma_f16 v53, v28, s4, -v60
	v_add_f16_e32 v53, v53, v54
	v_mul_f16_e32 v54, 0xb853, v12
	v_add_f16_e32 v59, v59, v61
	v_fma_f16 v61, v28, s4, v60
	v_fma_f16 v60, v23, s14, -v54
	v_add_f16_e32 v60, v60, v62
	v_mul_f16_e32 v62, 0xb853, v9
	v_fma_f16 v54, v23, s14, v54
	v_add_f16_e32 v54, v54, v55
	v_fma_f16 v55, v28, s14, -v62
	v_mul_f16_e32 v12, 0xba0c, v12
	v_add_f16_e32 v57, v57, v66
	v_add_f16_e32 v55, v55, v56
	v_fma_f16 v56, v23, s16, -v12
	v_mul_f16_e32 v9, 0xba0c, v9
	v_fma_f16 v12, v23, s16, v12
	v_add_f16_e32 v56, v56, v57
	v_fma_f16 v57, v28, s16, v9
	v_add_f16_e32 v10, v12, v10
	v_fma_f16 v9, v28, s16, -v9
	v_add_f16_e32 v12, v13, v14
	v_sub_f16_e32 v13, v13, v14
	v_add_f16_e32 v9, v9, v11
	v_add_f16_e32 v11, v67, v30
	v_sub_f16_e32 v23, v67, v30
	v_mul_f16_e32 v14, 0xba0c, v13
	v_add_f16_e32 v61, v61, v63
	v_fma_f16 v63, v28, s14, v62
	v_fma_f16 v28, v11, s16, -v14
	v_mul_f16_e32 v30, 0xba0c, v23
	v_fma_f16 v14, v11, s16, v14
	v_add_f16_e32 v14, v14, v24
	v_fma_f16 v24, v12, s16, -v30
	v_add_f16_e32 v28, v28, v46
	v_fma_f16 v46, v12, s16, v30
	v_add_f16_e32 v24, v24, v25
	v_mul_f16_e32 v25, 0x3beb, v13
	v_add_f16_e32 v46, v46, v48
	v_fma_f16 v30, v11, s5, -v25
	v_mul_f16_e32 v48, 0x3beb, v23
	v_fma_f16 v25, v11, s5, v25
	v_add_f16_e32 v49, v64, v49
	v_add_f16_e32 v30, v30, v50
	v_fma_f16 v50, v12, s5, v48
	v_add_f16_e32 v25, v25, v47
	v_fma_f16 v47, v12, s5, -v48
	v_mul_f16_e32 v48, 0xb853, v13
	v_add_f16_e32 v49, v57, v49
	v_add_f16_e32 v47, v47, v51
	v_fma_f16 v51, v11, s14, -v48
	v_mul_f16_e32 v57, 0xb853, v23
	v_fma_f16 v48, v11, s14, v48
	v_add_f16_e32 v48, v48, v52
	v_fma_f16 v52, v12, s14, -v57
	v_add_f16_e32 v52, v52, v53
	v_mul_f16_e32 v53, 0xb482, v13
	v_add_f16_e32 v50, v50, v59
	v_add_f16_e32 v51, v51, v58
	v_fma_f16 v58, v12, s14, v57
	v_fma_f16 v57, v11, s15, -v53
	v_mul_f16_e32 v59, 0xb482, v23
	v_fma_f16 v53, v11, s15, v53
	v_add_f16_e32 v53, v53, v54
	v_fma_f16 v54, v12, s15, -v59
	v_mul_f16_e32 v13, 0x3b47, v13
	v_add_f16_e32 v54, v54, v55
	v_fma_f16 v55, v11, s4, -v13
	v_mul_f16_e32 v23, 0x3b47, v23
	v_fma_f16 v11, v11, s4, v13
	v_add_f16_e32 v10, v11, v10
	v_fma_f16 v11, v12, s4, -v23
	v_add_f16_e32 v9, v11, v9
	v_add_f16_e32 v11, v26, v21
	v_sub_f16_e32 v13, v26, v21
	v_sub_f16_e32 v21, v27, v68
	v_add_f16_e32 v55, v55, v56
	v_fma_f16 v56, v12, s4, v23
	v_mul_f16_e32 v23, 0xb482, v21
	v_add_f16_e32 v57, v57, v60
	v_fma_f16 v60, v12, s15, v59
	v_add_f16_e32 v12, v27, v68
	v_fma_f16 v26, v11, s15, -v23
	v_mul_f16_e32 v27, 0xb482, v13
	v_fma_f16 v23, v11, s15, v23
	v_add_f16_e32 v14, v23, v14
	v_fma_f16 v23, v12, s15, -v27
	v_add_f16_e32 v23, v23, v24
	v_mul_f16_e32 v24, 0x3853, v21
	v_add_f16_e32 v26, v26, v28
	v_fma_f16 v28, v12, s15, v27
	v_fma_f16 v27, v11, s14, -v24
	v_add_f16_e32 v27, v27, v30
	v_mul_f16_e32 v30, 0x3853, v13
	v_fma_f16 v24, v11, s14, v24
	v_add_f16_e32 v28, v28, v46
	v_fma_f16 v46, v12, s14, v30
	v_add_f16_e32 v24, v24, v25
	v_fma_f16 v25, v12, s14, -v30
	v_mul_f16_e32 v30, 0xba0c, v21
	v_add_f16_e32 v50, v46, v50
	v_fma_f16 v46, v11, s16, -v30
	v_add_f16_e32 v25, v25, v47
	v_add_f16_e32 v47, v46, v51
	v_mul_f16_e32 v46, 0xba0c, v13
	v_fma_f16 v51, v12, s16, v46
	v_fma_f16 v30, v11, s16, v30
	v_fma_f16 v46, v12, s16, -v46
	v_add_f16_e32 v30, v30, v48
	v_add_f16_e32 v48, v46, v52
	v_mul_f16_e32 v46, 0x3b47, v21
	v_add_f16_e32 v49, v56, v49
	v_fma_f16 v52, v11, s4, -v46
	v_mul_f16_e32 v56, 0x3b47, v13
	v_fma_f16 v46, v11, s4, v46
	v_add_f16_e32 v53, v46, v53
	v_fma_f16 v46, v12, s4, -v56
	v_mul_f16_e32 v21, 0xbbeb, v21
	v_add_f16_e32 v54, v46, v54
	v_fma_f16 v46, v11, s5, -v21
	v_mul_f16_e32 v13, 0xbbeb, v13
	v_fma_f16 v11, v11, s5, v21
	v_add_f16_e32 v10, v11, v10
	v_fma_f16 v11, v12, s5, -v13
	v_add_f16_e32 v9, v11, v9
	v_lshrrev_b32_e32 v11, 2, v39
	v_add_f16_e32 v65, v70, v65
	v_mul_u32_u24_e32 v11, 44, v11
	v_add_f16_e32 v63, v63, v65
	v_add_f16_e32 v58, v58, v61
	;; [unrolled: 1-line block ×3, first 2 shown]
	v_fma_f16 v46, v12, s5, v13
	v_or_b32_e32 v8, v11, v8
	v_add_f16_e32 v60, v60, v63
	v_add_f16_e32 v51, v51, v58
	;; [unrolled: 1-line block ×3, first 2 shown]
	v_fma_f16 v57, v12, s4, v56
	v_add_f16_e32 v49, v46, v49
	v_lshlrev_b32_e32 v46, 2, v8
	v_pack_b32_f16 v8, v15, v22
	v_pack_b32_f16 v11, v26, v28
	v_add_f16_e32 v57, v57, v60
	s_waitcnt lgkmcnt(0)
	; wave barrier
	ds_write2_b32 v46, v8, v11 offset1:4
	v_pack_b32_f16 v8, v27, v50
	v_pack_b32_f16 v11, v47, v51
	ds_write2_b32 v46, v8, v11 offset0:8 offset1:12
	v_pack_b32_f16 v8, v52, v57
	v_pack_b32_f16 v11, v55, v49
	v_mad_u64_u32 v[12:13], s[2:3], v39, 40, s[2:3]
	ds_write2_b32 v46, v8, v11 offset0:16 offset1:20
	v_pack_b32_f16 v8, v10, v9
	v_pack_b32_f16 v9, v53, v54
	ds_write2_b32 v46, v8, v9 offset0:24 offset1:28
	v_pack_b32_f16 v8, v30, v48
	v_pack_b32_f16 v9, v24, v25
	ds_write2_b32 v46, v8, v9 offset0:32 offset1:36
	v_pack_b32_f16 v8, v14, v23
	ds_write_b32 v46, v8 offset:160
	s_waitcnt lgkmcnt(0)
	; wave barrier
	s_waitcnt lgkmcnt(0)
	global_load_dwordx4 v[8:11], v[12:13], off offset:160
	global_load_dwordx2 v[21:22], v[12:13], off offset:192
	ds_read2_b32 v[23:24], v31 offset1:44
	ds_read2_b32 v[25:26], v31 offset0:88 offset1:132
	ds_read_b32 v27, v31 offset:1760
	global_load_dwordx4 v[12:15], v[12:13], off offset:176
	s_mov_b32 s3, 0xbb47bbeb
	s_waitcnt lgkmcnt(2)
	v_lshrrev_b32_e32 v28, 16, v24
	s_waitcnt lgkmcnt(1)
	v_lshrrev_b32_e32 v30, 16, v25
	v_lshrrev_b32_e32 v47, 16, v26
	s_waitcnt lgkmcnt(0)
	v_lshrrev_b32_e32 v48, 16, v27
	s_mov_b32 s2, 0x36a6b08e
	s_waitcnt vmcnt(2)
	v_mul_f16_sdwa v49, v28, v8 dst_sel:DWORD dst_unused:UNUSED_PAD src0_sel:DWORD src1_sel:WORD_1
	v_fma_f16 v49, v24, v8, -v49
	v_mul_f16_sdwa v24, v24, v8 dst_sel:DWORD dst_unused:UNUSED_PAD src0_sel:DWORD src1_sel:WORD_1
	v_fma_f16 v24, v28, v8, v24
	v_mul_f16_sdwa v28, v30, v9 dst_sel:DWORD dst_unused:UNUSED_PAD src0_sel:DWORD src1_sel:WORD_1
	v_fma_f16 v28, v25, v9, -v28
	v_mul_f16_sdwa v25, v25, v9 dst_sel:DWORD dst_unused:UNUSED_PAD src0_sel:DWORD src1_sel:WORD_1
	v_fma_f16 v30, v30, v9, v25
	v_mul_f16_sdwa v25, v47, v10 dst_sel:DWORD dst_unused:UNUSED_PAD src0_sel:DWORD src1_sel:WORD_1
	v_fma_f16 v50, v26, v10, -v25
	s_waitcnt vmcnt(1)
	v_mul_f16_sdwa v25, v48, v22 dst_sel:DWORD dst_unused:UNUSED_PAD src0_sel:DWORD src1_sel:WORD_1
	v_fma_f16 v51, v27, v22, -v25
	v_mul_f16_sdwa v25, v27, v22 dst_sel:DWORD dst_unused:UNUSED_PAD src0_sel:DWORD src1_sel:WORD_1
	v_fma_f16 v27, v48, v22, v25
	v_add_f16_sdwa v52, v23, v24 dst_sel:DWORD dst_unused:UNUSED_PAD src0_sel:WORD_1 src1_sel:DWORD
	v_add_f16_e32 v53, v24, v27
	v_sub_f16_e32 v24, v24, v27
	v_add_f16_e32 v25, v49, v51
	v_mul_f16_e32 v54, 0xb853, v24
	v_mul_f16_e32 v58, 0xba0c, v24
	;; [unrolled: 1-line block ×3, first 2 shown]
	v_pk_mul_f16 v24, v24, s3 op_sel_hi:[0,1]
	v_fma_f16 v55, v25, s14, -v54
	v_fma_f16 v54, v25, s14, v54
	v_fma_f16 v59, v25, s16, -v58
	v_fma_f16 v58, v25, s16, v58
	;; [unrolled: 2-line block ×3, first 2 shown]
	v_pk_fma_f16 v66, v25, s2, v24 op_sel_hi:[0,1,1] neg_lo:[0,0,1] neg_hi:[0,0,1]
	v_pk_fma_f16 v68, v25, s2, v24 op_sel_hi:[0,1,1]
	ds_read2_b32 v[24:25], v31 offset0:176 offset1:220
	v_add_f16_e32 v48, v23, v49
	v_sub_f16_e32 v49, v49, v51
	v_mul_f16_e32 v56, 0xb853, v49
	v_mul_f16_e32 v60, 0xba0c, v49
	;; [unrolled: 1-line block ×3, first 2 shown]
	s_mov_b32 s3, 0xb08e36a6
	v_pk_mul_f16 v49, v49, s17 op_sel_hi:[0,1]
	v_mul_f16_sdwa v26, v26, v10 dst_sel:DWORD dst_unused:UNUSED_PAD src0_sel:DWORD src1_sel:WORD_1
	v_fma_f16 v57, v53, s14, v56
	v_fma_f16 v56, v53, s14, -v56
	v_fma_f16 v61, v53, s16, v60
	v_fma_f16 v60, v53, s16, -v60
	;; [unrolled: 2-line block ×3, first 2 shown]
	v_pk_fma_f16 v69, v53, s3, v49 op_sel_hi:[0,1,1]
	v_pk_fma_f16 v49, v53, s3, v49 op_sel_hi:[0,1,1] neg_lo:[0,0,1] neg_hi:[0,0,1]
	v_add_f16_e32 v55, v23, v55
	v_add_f16_sdwa v57, v23, v57 dst_sel:DWORD dst_unused:UNUSED_PAD src0_sel:WORD_1 src1_sel:DWORD
	v_add_f16_e32 v54, v23, v54
	v_add_f16_sdwa v56, v23, v56 dst_sel:DWORD dst_unused:UNUSED_PAD src0_sel:WORD_1 src1_sel:DWORD
	;; [unrolled: 2-line block ×6, first 2 shown]
	v_add_f16_sdwa v67, v23, v66 dst_sel:DWORD dst_unused:UNUSED_PAD src0_sel:DWORD src1_sel:WORD_1
	v_add_f16_sdwa v53, v23, v69 dst_sel:DWORD dst_unused:UNUSED_PAD src0_sel:WORD_1 src1_sel:DWORD
	v_add_f16_e32 v66, v23, v66
	v_add_f16_sdwa v69, v23, v69 dst_sel:DWORD dst_unused:UNUSED_PAD src0_sel:WORD_1 src1_sel:WORD_1
	v_pk_add_f16 v68, v23, v68 op_sel_hi:[0,1]
	v_pk_add_f16 v70, v23, v49 op_sel:[1,0]
	v_fma_f16 v47, v47, v10, v26
	s_waitcnt lgkmcnt(0)
	v_lshrrev_b32_e32 v23, 16, v24
	v_mul_f16_sdwa v26, v24, v11 dst_sel:DWORD dst_unused:UNUSED_PAD src0_sel:DWORD src1_sel:WORD_1
	v_fma_f16 v49, v23, v11, v26
	v_mul_f16_sdwa v23, v23, v11 dst_sel:DWORD dst_unused:UNUSED_PAD src0_sel:DWORD src1_sel:WORD_1
	v_fma_f16 v71, v24, v11, -v23
	ds_read2_b32 v[23:24], v29 offset0:8 offset1:52
	v_lshrrev_b32_e32 v26, 16, v25
	s_waitcnt vmcnt(0)
	v_mul_f16_sdwa v72, v26, v12 dst_sel:DWORD dst_unused:UNUSED_PAD src0_sel:DWORD src1_sel:WORD_1
	v_fma_f16 v72, v25, v12, -v72
	v_mul_f16_sdwa v25, v25, v12 dst_sel:DWORD dst_unused:UNUSED_PAD src0_sel:DWORD src1_sel:WORD_1
	v_fma_f16 v73, v26, v12, v25
	s_waitcnt lgkmcnt(0)
	v_lshrrev_b32_e32 v25, 16, v23
	v_mul_f16_sdwa v26, v23, v13 dst_sel:DWORD dst_unused:UNUSED_PAD src0_sel:DWORD src1_sel:WORD_1
	v_fma_f16 v74, v25, v13, v26
	v_mul_f16_sdwa v25, v25, v13 dst_sel:DWORD dst_unused:UNUSED_PAD src0_sel:DWORD src1_sel:WORD_1
	v_fma_f16 v23, v23, v13, -v25
	ds_read2_b32 v[25:26], v29 offset0:96 offset1:140
	v_lshrrev_b32_e32 v75, 16, v24
	v_mul_f16_sdwa v76, v75, v14 dst_sel:DWORD dst_unused:UNUSED_PAD src0_sel:DWORD src1_sel:WORD_1
	v_add_f16_e32 v48, v48, v28
	v_fma_f16 v76, v24, v14, -v76
	v_mul_f16_sdwa v24, v24, v14 dst_sel:DWORD dst_unused:UNUSED_PAD src0_sel:DWORD src1_sel:WORD_1
	v_add_f16_e32 v48, v48, v50
	v_fma_f16 v24, v75, v14, v24
	s_waitcnt lgkmcnt(0)
	v_lshrrev_b32_e32 v75, 16, v25
	v_mul_f16_sdwa v77, v25, v15 dst_sel:DWORD dst_unused:UNUSED_PAD src0_sel:DWORD src1_sel:WORD_1
	v_add_f16_e32 v48, v48, v71
	v_fma_f16 v77, v75, v15, v77
	v_mul_f16_sdwa v75, v75, v15 dst_sel:DWORD dst_unused:UNUSED_PAD src0_sel:DWORD src1_sel:WORD_1
	v_add_f16_e32 v48, v48, v72
	v_fma_f16 v25, v25, v15, -v75
	v_lshrrev_b32_e32 v75, 16, v26
	v_add_f16_e32 v48, v48, v23
	v_mul_f16_sdwa v78, v75, v21 dst_sel:DWORD dst_unused:UNUSED_PAD src0_sel:DWORD src1_sel:WORD_1
	v_add_f16_e32 v48, v48, v76
	v_fma_f16 v78, v26, v21, -v78
	v_add_f16_e32 v48, v48, v25
	v_add_f16_e32 v48, v48, v78
	;; [unrolled: 1-line block ×8, first 2 shown]
	v_mul_f16_sdwa v26, v26, v21 dst_sel:DWORD dst_unused:UNUSED_PAD src0_sel:DWORD src1_sel:WORD_1
	v_add_f16_e32 v48, v48, v24
	v_fma_f16 v26, v75, v21, v26
	v_add_f16_e32 v48, v48, v77
	v_add_f16_e32 v48, v48, v26
	v_add_f16_e32 v52, v30, v26
	v_sub_f16_e32 v26, v30, v26
	v_add_f16_e32 v27, v48, v27
	v_add_f16_e32 v48, v28, v78
	v_mul_f16_e32 v30, 0xbb47, v26
	v_sub_f16_e32 v28, v28, v78
	v_fma_f16 v75, v48, s4, -v30
	v_add_f16_e32 v55, v75, v55
	v_mul_f16_e32 v75, 0xbb47, v28
	v_fma_f16 v30, v48, s4, v30
	v_add_f16_e32 v30, v30, v54
	v_fma_f16 v54, v52, s4, -v75
	v_add_f16_e32 v54, v54, v56
	v_mul_f16_e32 v56, 0x3beb, v26
	v_fma_f16 v78, v52, s4, v75
	v_fma_f16 v75, v48, s5, -v56
	v_add_f16_e32 v59, v75, v59
	v_mul_f16_e32 v75, 0x3beb, v28
	v_fma_f16 v56, v48, s5, v56
	v_add_f16_e32 v56, v56, v58
	v_fma_f16 v58, v52, s5, -v75
	v_add_f16_e32 v58, v58, v60
	v_mul_f16_e32 v60, 0x3853, v26
	v_add_f16_e32 v57, v78, v57
	v_fma_f16 v78, v52, s5, v75
	v_fma_f16 v75, v48, s14, -v60
	v_add_f16_e32 v63, v75, v63
	v_mul_f16_e32 v75, 0x3853, v28
	v_fma_f16 v60, v48, s14, v60
	v_add_f16_e32 v61, v78, v61
	v_fma_f16 v78, v52, s14, v75
	v_add_f16_e32 v60, v60, v62
	v_fma_f16 v62, v52, s14, -v75
	v_sub_f16_e32 v75, v47, v77
	v_add_f16_e32 v62, v62, v64
	v_add_f16_e32 v64, v50, v25
	v_sub_f16_e32 v25, v50, v25
	v_add_f16_e32 v50, v47, v77
	v_mul_f16_e32 v47, 0xbbeb, v75
	v_fma_f16 v77, v64, s5, -v47
	v_add_f16_e32 v55, v77, v55
	v_mul_f16_e32 v77, 0xbbeb, v25
	v_fma_f16 v47, v64, s5, v47
	v_add_f16_e32 v30, v47, v30
	v_fma_f16 v47, v50, s5, -v77
	v_add_f16_e32 v47, v47, v54
	v_mul_f16_e32 v54, 0xb853, v75
	v_add_f16_e32 v65, v78, v65
	v_fma_f16 v78, v50, s5, v77
	v_fma_f16 v77, v64, s14, -v54
	v_add_f16_e32 v59, v77, v59
	v_mul_f16_e32 v77, 0xb853, v25
	v_fma_f16 v54, v64, s14, v54
	v_add_f16_e32 v54, v54, v56
	v_fma_f16 v56, v50, s14, -v77
	v_add_f16_e32 v56, v56, v58
	v_mul_f16_e32 v58, 0xba0c, v75
	v_add_f16_e32 v57, v78, v57
	v_fma_f16 v78, v50, s14, v77
	v_fma_f16 v77, v64, s16, -v58
	v_add_f16_e32 v63, v77, v63
	v_mul_f16_e32 v77, 0xba0c, v25
	v_fma_f16 v58, v64, s16, v58
	v_add_f16_e32 v58, v58, v60
	v_fma_f16 v60, v50, s16, -v77
	v_add_f16_e32 v60, v60, v62
	v_add_f16_e32 v62, v71, v76
	v_sub_f16_e32 v71, v71, v76
	v_add_f16_e32 v76, v49, v24
	v_sub_f16_e32 v24, v49, v24
	v_mul_f16_e32 v49, 0xba0c, v24
	v_add_f16_e32 v61, v78, v61
	v_fma_f16 v78, v50, s16, v77
	v_fma_f16 v77, v62, s16, -v49
	v_add_f16_e32 v55, v77, v55
	v_mul_f16_e32 v77, 0xba0c, v71
	v_fma_f16 v49, v62, s16, v49
	v_add_f16_e32 v30, v49, v30
	v_fma_f16 v49, v76, s16, -v77
	v_add_f16_e32 v49, v49, v47
	v_mul_f16_e32 v47, 0xb482, v24
	v_add_f16_e32 v65, v78, v65
	v_fma_f16 v78, v76, s16, v77
	v_fma_f16 v77, v62, s15, -v47
	v_add_f16_e32 v59, v77, v59
	v_mul_f16_e32 v77, 0xb482, v71
	v_fma_f16 v47, v62, s15, v47
	v_add_f16_e32 v54, v47, v54
	v_fma_f16 v47, v76, s15, -v77
	v_add_f16_e32 v56, v47, v56
	v_mul_f16_e32 v47, 0x3b47, v24
	v_add_f16_e32 v57, v78, v57
	v_fma_f16 v78, v76, s15, v77
	v_fma_f16 v77, v62, s4, -v47
	v_add_f16_e32 v63, v77, v63
	v_mul_f16_e32 v77, 0x3b47, v71
	v_fma_f16 v47, v62, s4, v47
	v_add_f16_e32 v61, v78, v61
	v_fma_f16 v78, v76, s4, v77
	v_add_f16_e32 v58, v47, v58
	v_fma_f16 v47, v76, s4, -v77
	v_add_f16_e32 v77, v72, v23
	v_sub_f16_e32 v23, v72, v23
	v_add_f16_e32 v72, v73, v74
	v_sub_f16_e32 v73, v73, v74
	v_add_f16_e32 v60, v47, v60
	v_mul_f16_e32 v47, 0xb482, v73
	v_fma_f16 v74, v77, s15, -v47
	v_add_f16_e32 v55, v74, v55
	v_mul_f16_e32 v74, 0xb482, v23
	v_fma_f16 v47, v77, s15, v47
	s_mov_b32 s3, 0xba0c3482
	v_add_f16_e32 v47, v47, v30
	v_fma_f16 v30, v72, s15, -v74
	s_mov_b32 s2, 0xb93dbbad
	v_pk_mul_f16 v26, v26, s3 op_sel_hi:[0,1]
	s_mov_b32 s14, 0x3482ba0c
	v_add_f16_e32 v49, v30, v49
	v_pk_fma_f16 v30, v48, s2, v26 op_sel_hi:[0,1,1] neg_lo:[0,0,1] neg_hi:[0,0,1]
	s_mov_b32 s3, 0xbbadb93d
	v_pk_mul_f16 v28, v28, s14 op_sel_hi:[0,1]
	v_add_f16_sdwa v67, v30, v67 dst_sel:DWORD dst_unused:UNUSED_PAD src0_sel:WORD_1 src1_sel:DWORD
	v_add_f16_e32 v30, v30, v66
	v_pk_fma_f16 v66, v52, s3, v28 op_sel_hi:[0,1,1]
	v_pk_fma_f16 v28, v52, s3, v28 op_sel_hi:[0,1,1] neg_lo:[0,0,1] neg_hi:[0,0,1]
	s_mov_b32 s3, 0x34823b47
	v_pk_fma_f16 v26, v48, s2, v26 op_sel_hi:[0,1,1]
	s_mov_b32 s2, 0xbbad36a6
	v_pk_mul_f16 v48, v75, s3 op_sel_hi:[0,1]
	s_mov_b32 s14, 0x3b473482
	v_pk_fma_f16 v52, v64, s2, v48 op_sel_hi:[0,1,1] neg_lo:[0,0,1] neg_hi:[0,0,1]
	s_mov_b32 s3, 0x36a6bbad
	v_pk_mul_f16 v25, v25, s14 op_sel_hi:[0,1]
	v_add_f16_sdwa v67, v52, v67 dst_sel:DWORD dst_unused:UNUSED_PAD src0_sel:WORD_1 src1_sel:DWORD
	v_add_f16_e32 v30, v52, v30
	v_pk_fma_f16 v52, v50, s3, v25 op_sel_hi:[0,1,1]
	v_pk_fma_f16 v25, v50, s3, v25 op_sel_hi:[0,1,1] neg_lo:[0,0,1] neg_hi:[0,0,1]
	s_mov_b32 s3, 0x3bebb853
	v_pk_add_f16 v28, v28, v70
	v_pk_fma_f16 v48, v64, s2, v48 op_sel_hi:[0,1,1]
	s_mov_b32 s2, 0xb08e3abb
	v_pk_mul_f16 v24, v24, s3 op_sel_hi:[0,1]
	v_pk_add_f16 v26, v26, v68
	v_pk_add_f16 v25, v25, v28
	v_pk_fma_f16 v28, v62, s2, v24 op_sel_hi:[0,1,1] neg_lo:[0,0,1] neg_hi:[0,0,1]
	s_mov_b32 s14, 0xb8533beb
	v_pk_add_f16 v26, v48, v26
	v_add_f16_sdwa v48, v28, v67 dst_sel:DWORD dst_unused:UNUSED_PAD src0_sel:WORD_1 src1_sel:DWORD
	v_add_f16_e32 v28, v28, v30
	s_mov_b32 s3, 0x3abbb08e
	v_pk_mul_f16 v30, v71, s14 op_sel_hi:[0,1]
	v_pk_fma_f16 v24, v62, s2, v24 op_sel_hi:[0,1,1]
	v_pk_fma_f16 v50, v76, s3, v30 op_sel_hi:[0,1,1]
	v_pk_add_f16 v24, v24, v26
	v_pk_fma_f16 v26, v76, s3, v30 op_sel_hi:[0,1,1] neg_lo:[0,0,1] neg_hi:[0,0,1]
	s_mov_b32 s3, 0x3853ba0c
	v_add_f16_e32 v53, v66, v53
	v_add_f16_sdwa v66, v66, v69 dst_sel:DWORD dst_unused:UNUSED_PAD src0_sel:WORD_1 src1_sel:DWORD
	v_pk_add_f16 v25, v26, v25
	s_mov_b32 s2, 0x3abbb93d
	v_pk_mul_f16 v26, v73, s3 op_sel_hi:[0,1]
	v_add_f16_e32 v53, v52, v53
	v_add_f16_sdwa v52, v52, v66 dst_sel:DWORD dst_unused:UNUSED_PAD src0_sel:WORD_1 src1_sel:DWORD
	v_pk_fma_f16 v30, v77, s2, v26 op_sel_hi:[0,1,1] neg_lo:[0,0,1] neg_hi:[0,0,1]
	s_mov_b32 s14, 0xba0c3853
	v_add_f16_e32 v53, v50, v53
	v_add_f16_sdwa v50, v50, v52 dst_sel:DWORD dst_unused:UNUSED_PAD src0_sel:WORD_1 src1_sel:DWORD
	v_add_f16_sdwa v52, v30, v48 dst_sel:DWORD dst_unused:UNUSED_PAD src0_sel:WORD_1 src1_sel:DWORD
	s_mov_b32 s3, 0xb93d3abb
	v_pk_mul_f16 v48, v23, s14 op_sel_hi:[0,1]
	v_add_f16_e32 v28, v30, v28
	v_pk_fma_f16 v30, v72, s3, v48 op_sel_hi:[0,1,1]
	v_pk_fma_f16 v26, v77, s2, v26 op_sel_hi:[0,1,1]
	v_add_f16_e32 v53, v30, v53
	v_add_f16_sdwa v30, v30, v50 dst_sel:DWORD dst_unused:UNUSED_PAD src0_sel:WORD_1 src1_sel:DWORD
	v_pk_add_f16 v50, v26, v24
	v_pk_fma_f16 v24, v72, s3, v48 op_sel_hi:[0,1,1] neg_lo:[0,0,1] neg_hi:[0,0,1]
	v_pk_add_f16 v48, v24, v25
	v_mul_f16_e32 v24, 0x3b47, v73
	v_fma_f16 v25, v77, s4, -v24
	v_mul_f16_e32 v26, 0x3b47, v23
	v_fma_f16 v24, v77, s4, v24
	v_add_f16_e32 v65, v78, v65
	v_fma_f16 v78, v72, s15, v74
	v_add_f16_e32 v25, v25, v59
	;; [unrolled: 2-line block ×3, first 2 shown]
	v_fma_f16 v26, v72, s4, -v26
	v_mul_f16_e32 v54, 0xbbeb, v73
	v_mul_f16_e32 v23, 0xbbeb, v23
	v_add_f16_e32 v57, v78, v57
	v_add_f16_e32 v59, v59, v61
	v_add_f16_e32 v26, v26, v56
	v_fma_f16 v56, v77, s5, -v54
	v_fma_f16 v61, v72, s5, v23
	v_fma_f16 v54, v77, s5, v54
	v_fma_f16 v23, v72, s5, -v23
	v_add_f16_e32 v54, v54, v58
	v_add_f16_e32 v23, v23, v60
	v_pack_b32_f16 v27, v51, v27
	v_pack_b32_f16 v51, v55, v57
	ds_write2_b32 v31, v27, v51 offset1:44
	v_pack_b32_f16 v27, v52, v53
	v_pack_b32_f16 v28, v28, v30
	;; [unrolled: 1-line block ×4, first 2 shown]
	s_mov_b32 s2, 0xffff
	v_add_f16_e32 v56, v56, v63
	v_add_f16_e32 v61, v61, v65
	ds_write2_b32 v31, v27, v28 offset0:88 offset1:132
	ds_write2_b32 v29, v23, v24 offset0:8 offset1:52
	v_bfi_b32 v23, s2, v50, v48
	v_alignbit_b32 v24, v48, v50, 16
	v_pack_b32_f16 v25, v25, v59
	v_pack_b32_f16 v27, v56, v61
	ds_write2_b32 v29, v23, v24 offset0:96 offset1:140
	v_pack_b32_f16 v23, v47, v49
	ds_write2_b32 v31, v25, v27 offset0:176 offset1:220
	ds_write_b32 v31, v23 offset:1760
	s_waitcnt lgkmcnt(0)
	; wave barrier
	s_waitcnt lgkmcnt(0)
	global_load_dword v25, v[16:17], off offset:1936
	s_add_u32 s2, s12, 0x790
	s_addc_u32 s3, s13, 0
	global_load_dword v28, v31, s[2:3] offset:484
	global_load_dword v30, v31, s[2:3] offset:968
	;; [unrolled: 1-line block ×7, first 2 shown]
	ds_read2_b32 v[23:24], v31 offset1:44
	s_waitcnt lgkmcnt(0)
	v_lshrrev_b32_e32 v26, 16, v23
	s_waitcnt vmcnt(7)
	v_mul_f16_sdwa v27, v26, v25 dst_sel:DWORD dst_unused:UNUSED_PAD src0_sel:DWORD src1_sel:WORD_1
	v_fma_f16 v27, v23, v25, -v27
	v_mul_f16_sdwa v23, v23, v25 dst_sel:DWORD dst_unused:UNUSED_PAD src0_sel:DWORD src1_sel:WORD_1
	v_fma_f16 v23, v26, v25, v23
	v_pack_b32_f16 v23, v27, v23
	ds_write_b32 v31, v23
	ds_read2_b32 v[25:26], v31 offset0:121 offset1:165
	v_add_u32_e32 v27, 0x200, v31
	ds_read2_b32 v[51:52], v27 offset0:114 offset1:158
	s_waitcnt lgkmcnt(1)
	v_lshrrev_b32_e32 v23, 16, v25
	s_waitcnt vmcnt(6)
	v_mul_f16_sdwa v53, v23, v28 dst_sel:DWORD dst_unused:UNUSED_PAD src0_sel:DWORD src1_sel:WORD_1
	v_fma_f16 v53, v25, v28, -v53
	v_mul_f16_sdwa v25, v25, v28 dst_sel:DWORD dst_unused:UNUSED_PAD src0_sel:DWORD src1_sel:WORD_1
	v_fma_f16 v23, v23, v28, v25
	v_pack_b32_f16 v23, v53, v23
	ds_read2_b32 v[53:54], v29 offset0:107 offset1:151
	s_waitcnt lgkmcnt(1)
	v_lshrrev_b32_e32 v25, 16, v51
	s_waitcnt vmcnt(5)
	v_mul_f16_sdwa v28, v25, v30 dst_sel:DWORD dst_unused:UNUSED_PAD src0_sel:DWORD src1_sel:WORD_1
	v_fma_f16 v28, v51, v30, -v28
	v_mul_f16_sdwa v51, v51, v30 dst_sel:DWORD dst_unused:UNUSED_PAD src0_sel:DWORD src1_sel:WORD_1
	v_fma_f16 v25, v25, v30, v51
	v_pack_b32_f16 v25, v28, v25
	s_waitcnt lgkmcnt(0)
	v_lshrrev_b32_e32 v28, 16, v53
	s_waitcnt vmcnt(4)
	v_mul_f16_sdwa v30, v28, v55 dst_sel:DWORD dst_unused:UNUSED_PAD src0_sel:DWORD src1_sel:WORD_1
	v_mul_f16_sdwa v51, v53, v55 dst_sel:DWORD dst_unused:UNUSED_PAD src0_sel:DWORD src1_sel:WORD_1
	v_fma_f16 v30, v53, v55, -v30
	v_fma_f16 v28, v28, v55, v51
	v_pack_b32_f16 v28, v30, v28
	v_lshrrev_b32_e32 v30, 16, v24
	s_waitcnt vmcnt(0)
	v_mul_f16_sdwa v51, v30, v59 dst_sel:DWORD dst_unused:UNUSED_PAD src0_sel:DWORD src1_sel:WORD_1
	v_fma_f16 v51, v24, v59, -v51
	v_mul_f16_sdwa v24, v24, v59 dst_sel:DWORD dst_unused:UNUSED_PAD src0_sel:DWORD src1_sel:WORD_1
	v_fma_f16 v24, v30, v59, v24
	v_pack_b32_f16 v24, v51, v24
	ds_write2_b32 v31, v24, v23 offset0:44 offset1:121
	v_lshrrev_b32_e32 v23, 16, v26
	v_mul_f16_sdwa v24, v23, v58 dst_sel:DWORD dst_unused:UNUSED_PAD src0_sel:DWORD src1_sel:WORD_1
	v_fma_f16 v24, v26, v58, -v24
	v_mul_f16_sdwa v26, v26, v58 dst_sel:DWORD dst_unused:UNUSED_PAD src0_sel:DWORD src1_sel:WORD_1
	v_fma_f16 v23, v23, v58, v26
	v_pack_b32_f16 v23, v24, v23
	ds_write2_b32 v31, v23, v25 offset0:165 offset1:242
	v_lshrrev_b32_e32 v23, 16, v52
	v_mul_f16_sdwa v24, v23, v57 dst_sel:DWORD dst_unused:UNUSED_PAD src0_sel:DWORD src1_sel:WORD_1
	v_mul_f16_sdwa v25, v52, v57 dst_sel:DWORD dst_unused:UNUSED_PAD src0_sel:DWORD src1_sel:WORD_1
	v_fma_f16 v24, v52, v57, -v24
	v_fma_f16 v23, v23, v57, v25
	v_pack_b32_f16 v23, v24, v23
	ds_write2_b32 v29, v23, v28 offset0:30 offset1:107
	v_lshrrev_b32_e32 v23, 16, v54
	v_mul_f16_sdwa v24, v23, v56 dst_sel:DWORD dst_unused:UNUSED_PAD src0_sel:DWORD src1_sel:WORD_1
	v_mul_f16_sdwa v25, v54, v56 dst_sel:DWORD dst_unused:UNUSED_PAD src0_sel:DWORD src1_sel:WORD_1
	v_fma_f16 v24, v54, v56, -v24
	v_fma_f16 v23, v23, v56, v25
	v_pack_b32_f16 v23, v24, v23
	ds_write_b32 v31, v23 offset:1628
	s_and_saveexec_b64 s[4:5], s[0:1]
	s_cbranch_execz .LBB0_9
; %bb.8:
	v_mov_b32_e32 v24, s3
	v_add_co_u32_e32 v23, vcc, s2, v31
	v_addc_co_u32_e32 v24, vcc, 0, v24, vcc
	global_load_dword v28, v[23:24], off offset:352
	global_load_dword v30, v[23:24], off offset:836
	;; [unrolled: 1-line block ×4, first 2 shown]
	ds_read2_b32 v[23:24], v31 offset0:88 offset1:209
	ds_read2_b32 v[25:26], v29 offset0:74 offset1:195
	s_waitcnt lgkmcnt(1)
	v_lshrrev_b32_e32 v53, 16, v23
	v_lshrrev_b32_e32 v54, 16, v24
	s_waitcnt lgkmcnt(0)
	v_lshrrev_b32_e32 v55, 16, v25
	v_lshrrev_b32_e32 v56, 16, v26
	s_waitcnt vmcnt(3)
	v_mul_f16_sdwa v57, v53, v28 dst_sel:DWORD dst_unused:UNUSED_PAD src0_sel:DWORD src1_sel:WORD_1
	v_mul_f16_sdwa v58, v23, v28 dst_sel:DWORD dst_unused:UNUSED_PAD src0_sel:DWORD src1_sel:WORD_1
	s_waitcnt vmcnt(2)
	v_mul_f16_sdwa v59, v54, v30 dst_sel:DWORD dst_unused:UNUSED_PAD src0_sel:DWORD src1_sel:WORD_1
	v_mul_f16_sdwa v60, v24, v30 dst_sel:DWORD dst_unused:UNUSED_PAD src0_sel:DWORD src1_sel:WORD_1
	;; [unrolled: 3-line block ×4, first 2 shown]
	v_fma_f16 v23, v23, v28, -v57
	v_fma_f16 v28, v53, v28, v58
	v_fma_f16 v24, v24, v30, -v59
	v_fma_f16 v30, v54, v30, v60
	;; [unrolled: 2-line block ×4, first 2 shown]
	v_pack_b32_f16 v23, v23, v28
	v_pack_b32_f16 v24, v24, v30
	;; [unrolled: 1-line block ×4, first 2 shown]
	ds_write2_b32 v31, v23, v24 offset0:88 offset1:209
	ds_write2_b32 v29, v25, v26 offset0:74 offset1:195
.LBB0_9:
	s_or_b64 exec, exec, s[4:5]
	s_waitcnt lgkmcnt(0)
	; wave barrier
	s_waitcnt lgkmcnt(0)
	ds_read2_b32 v[23:24], v31 offset1:44
	ds_read2_b32 v[25:26], v31 offset0:121 offset1:165
	ds_read2_b32 v[27:28], v27 offset0:114 offset1:158
	ds_read2_b32 v[29:30], v29 offset0:107 offset1:151
	s_mov_b32 s4, 0x5040100
	v_add_u32_e32 v43, 0x2c0, v43
	v_perm_b32 v45, v49, v45, s4
	v_perm_b32 v44, v44, v47, s4
	s_and_saveexec_b64 s[2:3], s[0:1]
	s_cbranch_execz .LBB0_11
; %bb.10:
	v_add_u32_e32 v47, 0x400, v31
	ds_read2_b32 v[44:45], v31 offset0:88 offset1:209
	ds_read2_b32 v[51:52], v47 offset0:74 offset1:195
	s_mov_b32 s5, 0x7060302
	s_waitcnt lgkmcnt(1)
	v_perm_b32 v48, v44, v45, s5
	v_perm_b32 v50, v45, v44, s4
	s_waitcnt lgkmcnt(0)
	v_perm_b32 v45, v51, v52, s5
	v_perm_b32 v44, v52, v51, s4
.LBB0_11:
	s_or_b64 exec, exec, s[2:3]
	s_waitcnt lgkmcnt(1)
	v_pk_add_f16 v27, v23, v27 neg_lo:[0,1] neg_hi:[0,1]
	s_waitcnt lgkmcnt(0)
	v_pk_add_f16 v29, v25, v29 neg_lo:[0,1] neg_hi:[0,1]
	v_lshrrev_b32_e32 v49, 16, v27
	v_pk_add_f16 v53, v24, v28 neg_lo:[0,1] neg_hi:[0,1]
	v_pk_fma_f16 v23, v23, 2.0, v27 op_sel_hi:[1,0,1] neg_lo:[0,0,1] neg_hi:[0,0,1]
	v_pk_fma_f16 v25, v25, 2.0, v29 op_sel_hi:[1,0,1] neg_lo:[0,0,1] neg_hi:[0,0,1]
	v_add_f16_sdwa v47, v27, v29 dst_sel:DWORD dst_unused:UNUSED_PAD src0_sel:DWORD src1_sel:WORD_1
	v_sub_f16_e32 v51, v49, v29
	v_pk_add_f16 v54, v26, v30 neg_lo:[0,1] neg_hi:[0,1]
	v_lshrrev_b32_e32 v28, 16, v53
	v_pk_add_f16 v29, v23, v25 neg_lo:[0,1] neg_hi:[0,1]
	v_fma_f16 v52, v27, 2.0, -v47
	v_add_f16_sdwa v55, v53, v54 dst_sel:DWORD dst_unused:UNUSED_PAD src0_sel:DWORD src1_sel:WORD_1
	v_sub_f16_e32 v56, v28, v54
	v_pk_fma_f16 v27, v23, 2.0, v29 op_sel_hi:[1,0,1] neg_lo:[0,0,1] neg_hi:[0,0,1]
	v_pk_fma_f16 v23, v24, 2.0, v53 op_sel_hi:[1,0,1] neg_lo:[0,0,1] neg_hi:[0,0,1]
	;; [unrolled: 1-line block ×3, first 2 shown]
	v_fma_f16 v49, v49, 2.0, -v51
	v_fma_f16 v57, v53, 2.0, -v55
	;; [unrolled: 1-line block ×3, first 2 shown]
	v_pk_add_f16 v25, v23, v24 neg_lo:[0,1] neg_hi:[0,1]
	v_pack_b32_f16 v30, v47, v51
	v_pack_b32_f16 v28, v52, v49
	v_pk_fma_f16 v23, v23, 2.0, v25 op_sel_hi:[1,0,1] neg_lo:[0,0,1] neg_hi:[0,0,1]
	v_pack_b32_f16 v26, v55, v56
	v_pack_b32_f16 v24, v57, v58
	s_waitcnt lgkmcnt(0)
	; wave barrier
	ds_write_b128 v42, v[27:30]
	ds_write_b128 v43, v[23:26]
	s_and_saveexec_b64 s[2:3], s[0:1]
	s_cbranch_execz .LBB0_13
; %bb.12:
	v_pk_add_f16 v23, v50, v44 neg_lo:[0,1] neg_hi:[0,1]
	v_lshrrev_b32_e32 v27, 16, v50
	v_lshrrev_b32_e32 v28, 16, v23
	v_fma_f16 v26, v50, 2.0, -v23
	v_fma_f16 v27, v27, 2.0, -v28
	v_pk_add_f16 v24, v48, v45 neg_lo:[0,1] neg_hi:[0,1]
	v_sub_f16_e32 v27, v26, v27
	v_lshrrev_b32_e32 v25, 16, v24
	v_fma_f16 v29, v26, 2.0, -v27
	v_lshrrev_b32_e32 v26, 16, v48
	v_fma_f16 v26, v26, 2.0, -v25
	v_fma_f16 v30, v48, 2.0, -v24
	v_sub_f16_e32 v30, v26, v30
	v_fma_f16 v42, v26, 2.0, -v30
	v_add_f16_e32 v24, v24, v23
	v_sub_f16_e32 v26, v25, v28
	v_fma_f16 v23, v23, 2.0, -v24
	v_fma_f16 v28, v25, 2.0, -v26
	v_pack_b32_f16 v26, v24, v26
	v_pack_b32_f16 v25, v27, v30
	;; [unrolled: 1-line block ×4, first 2 shown]
	ds_write_b128 v41, v[23:26]
.LBB0_13:
	s_or_b64 exec, exec, s[2:3]
	s_waitcnt lgkmcnt(0)
	; wave barrier
	s_waitcnt lgkmcnt(0)
	ds_read2_b32 v[24:25], v31 offset1:44
	ds_read2_b32 v[26:27], v31 offset0:88 offset1:132
	ds_read2_b32 v[28:29], v31 offset0:176 offset1:220
	v_add_u32_e32 v23, 0x400, v31
	ds_read2_b32 v[41:42], v23 offset0:8 offset1:52
	s_waitcnt lgkmcnt(3)
	v_lshrrev_b32_e32 v30, 16, v25
	v_mul_f16_sdwa v56, v0, v30 dst_sel:DWORD dst_unused:UNUSED_PAD src0_sel:WORD_1 src1_sel:DWORD
	s_waitcnt lgkmcnt(2)
	v_lshrrev_b32_e32 v45, 16, v26
	v_fma_f16 v56, v0, v25, v56
	v_mul_f16_sdwa v25, v0, v25 dst_sel:DWORD dst_unused:UNUSED_PAD src0_sel:WORD_1 src1_sel:DWORD
	v_fma_f16 v0, v0, v30, -v25
	v_mul_f16_sdwa v25, v1, v45 dst_sel:DWORD dst_unused:UNUSED_PAD src0_sel:WORD_1 src1_sel:DWORD
	v_lshrrev_b32_e32 v47, 16, v27
	v_fma_f16 v25, v1, v26, v25
	v_mul_f16_sdwa v26, v1, v26 dst_sel:DWORD dst_unused:UNUSED_PAD src0_sel:WORD_1 src1_sel:DWORD
	v_fma_f16 v1, v1, v45, -v26
	v_mul_f16_sdwa v26, v2, v47 dst_sel:DWORD dst_unused:UNUSED_PAD src0_sel:WORD_1 src1_sel:DWORD
	s_waitcnt lgkmcnt(1)
	v_lshrrev_b32_e32 v48, 16, v28
	v_fma_f16 v26, v2, v27, v26
	v_mul_f16_sdwa v27, v2, v27 dst_sel:DWORD dst_unused:UNUSED_PAD src0_sel:WORD_1 src1_sel:DWORD
	ds_read2_b32 v[43:44], v23 offset0:96 offset1:140
	v_fma_f16 v2, v2, v47, -v27
	v_mul_f16_sdwa v27, v3, v48 dst_sel:DWORD dst_unused:UNUSED_PAD src0_sel:WORD_1 src1_sel:DWORD
	v_lshrrev_b32_e32 v49, 16, v29
	v_fma_f16 v27, v3, v28, v27
	v_mul_f16_sdwa v28, v3, v28 dst_sel:DWORD dst_unused:UNUSED_PAD src0_sel:WORD_1 src1_sel:DWORD
	ds_read_b32 v50, v31 offset:1760
	v_fma_f16 v3, v3, v48, -v28
	v_mul_f16_sdwa v28, v4, v49 dst_sel:DWORD dst_unused:UNUSED_PAD src0_sel:WORD_1 src1_sel:DWORD
	s_waitcnt lgkmcnt(2)
	v_lshrrev_b32_e32 v51, 16, v41
	v_fma_f16 v28, v4, v29, v28
	v_mul_f16_sdwa v29, v4, v29 dst_sel:DWORD dst_unused:UNUSED_PAD src0_sel:WORD_1 src1_sel:DWORD
	v_lshrrev_b32_e32 v52, 16, v42
	v_fma_f16 v4, v4, v49, -v29
	v_mul_f16_sdwa v29, v5, v51 dst_sel:DWORD dst_unused:UNUSED_PAD src0_sel:WORD_1 src1_sel:DWORD
	v_mul_f16_sdwa v30, v5, v41 dst_sel:DWORD dst_unused:UNUSED_PAD src0_sel:WORD_1 src1_sel:DWORD
	s_waitcnt lgkmcnt(1)
	v_lshrrev_b32_e32 v53, 16, v43
	v_fma_f16 v29, v5, v41, v29
	v_fma_f16 v5, v5, v51, -v30
	v_mul_f16_sdwa v30, v6, v52 dst_sel:DWORD dst_unused:UNUSED_PAD src0_sel:WORD_1 src1_sel:DWORD
	v_mul_f16_sdwa v41, v6, v42 dst_sel:DWORD dst_unused:UNUSED_PAD src0_sel:WORD_1 src1_sel:DWORD
	v_lshrrev_b32_e32 v54, 16, v44
	v_fma_f16 v30, v6, v42, v30
	v_fma_f16 v6, v6, v52, -v41
	v_mul_f16_sdwa v41, v7, v53 dst_sel:DWORD dst_unused:UNUSED_PAD src0_sel:WORD_1 src1_sel:DWORD
	v_mul_f16_sdwa v42, v7, v43 dst_sel:DWORD dst_unused:UNUSED_PAD src0_sel:WORD_1 src1_sel:DWORD
	s_waitcnt lgkmcnt(0)
	v_lshrrev_b32_e32 v55, 16, v50
	v_fma_f16 v41, v7, v43, v41
	v_fma_f16 v7, v7, v53, -v42
	v_mul_f16_sdwa v42, v19, v54 dst_sel:DWORD dst_unused:UNUSED_PAD src0_sel:WORD_1 src1_sel:DWORD
	v_mul_f16_sdwa v43, v19, v44 dst_sel:DWORD dst_unused:UNUSED_PAD src0_sel:WORD_1 src1_sel:DWORD
	v_fma_f16 v42, v19, v44, v42
	v_fma_f16 v19, v19, v54, -v43
	v_mul_f16_sdwa v43, v20, v55 dst_sel:DWORD dst_unused:UNUSED_PAD src0_sel:WORD_1 src1_sel:DWORD
	v_mul_f16_sdwa v44, v20, v50 dst_sel:DWORD dst_unused:UNUSED_PAD src0_sel:WORD_1 src1_sel:DWORD
	v_fma_f16 v43, v20, v50, v43
	v_fma_f16 v20, v20, v55, -v44
	v_add_f16_e32 v44, v24, v56
	v_add_f16_sdwa v45, v24, v0 dst_sel:DWORD dst_unused:UNUSED_PAD src0_sel:WORD_1 src1_sel:DWORD
	v_add_f16_e32 v44, v44, v25
	v_add_f16_e32 v45, v45, v1
	;; [unrolled: 1-line block ×17, first 2 shown]
	v_sub_f16_e32 v0, v0, v20
	v_add_f16_e32 v44, v44, v43
	v_add_f16_e32 v45, v45, v20
	v_add_f16_e32 v47, v56, v43
	v_sub_f16_e32 v43, v56, v43
	s_mov_b32 s13, 0xb853
	v_mul_f16_e32 v20, 0xb853, v0
	s_movk_i32 s14, 0x3abb
	v_mul_f16_e32 v50, 0x3abb, v48
	s_movk_i32 s15, 0x3853
	s_mov_b32 s3, 0xbb47
	v_mul_f16_e32 v52, 0xbb47, v0
	s_movk_i32 s4, 0x36a6
	v_mul_f16_e32 v54, 0x36a6, v48
	s_movk_i32 s5, 0x3b47
	s_mov_b32 s2, 0xbbeb
	v_mul_f16_e32 v56, 0xbbeb, v0
	s_mov_b32 s12, 0xb08e
	v_mul_f16_e32 v58, 0xb08e, v48
	s_movk_i32 s16, 0x3beb
	s_mov_b32 s17, 0xba0c
	v_mul_f16_e32 v60, 0xba0c, v0
	s_mov_b32 s18, 0xb93d
	;; [unrolled: 5-line block ×3, first 2 shown]
	v_mul_f16_e32 v48, 0xbbad, v48
	s_movk_i32 s22, 0x3482
	v_fma_f16 v49, v47, s14, v20
	v_fma_f16 v51, v43, s15, v50
	v_fma_f16 v20, v47, s14, -v20
	v_fma_f16 v50, v43, s13, v50
	v_fma_f16 v53, v47, s4, v52
	v_fma_f16 v55, v43, s5, v54
	v_fma_f16 v52, v47, s4, -v52
	v_fma_f16 v54, v43, s3, v54
	v_fma_f16 v57, v47, s12, v56
	v_fma_f16 v59, v43, s16, v58
	v_fma_f16 v56, v47, s12, -v56
	v_fma_f16 v58, v43, s2, v58
	v_fma_f16 v61, v47, s18, v60
	v_fma_f16 v63, v43, s19, v62
	v_fma_f16 v60, v47, s18, -v60
	v_fma_f16 v62, v43, s17, v62
	v_fma_f16 v64, v47, s21, v0
	v_fma_f16 v65, v43, s22, v48
	v_fma_f16 v0, v47, s21, -v0
	v_fma_f16 v43, v43, s20, v48
	v_add_f16_e32 v47, v1, v19
	v_sub_f16_e32 v1, v1, v19
	v_add_f16_e32 v49, v24, v49
	v_add_f16_sdwa v51, v24, v51 dst_sel:DWORD dst_unused:UNUSED_PAD src0_sel:WORD_1 src1_sel:DWORD
	v_add_f16_e32 v20, v24, v20
	v_add_f16_sdwa v50, v24, v50 dst_sel:DWORD dst_unused:UNUSED_PAD src0_sel:WORD_1 src1_sel:DWORD
	;; [unrolled: 2-line block ×10, first 2 shown]
	v_add_f16_e32 v43, v25, v42
	v_mul_f16_e32 v19, 0xbb47, v1
	v_sub_f16_e32 v25, v25, v42
	v_fma_f16 v42, v43, s4, v19
	v_mul_f16_e32 v48, 0x36a6, v47
	v_fma_f16 v19, v43, s4, -v19
	v_add_f16_e32 v42, v42, v49
	v_fma_f16 v49, v25, s5, v48
	v_add_f16_e32 v19, v19, v20
	v_fma_f16 v20, v25, s3, v48
	v_mul_f16_e32 v48, 0xba0c, v1
	v_add_f16_e32 v49, v49, v51
	v_add_f16_e32 v20, v20, v50
	v_fma_f16 v50, v43, s18, v48
	v_mul_f16_e32 v51, 0xb93d, v47
	v_fma_f16 v48, v43, s18, -v48
	v_add_f16_e32 v50, v50, v53
	v_fma_f16 v53, v25, s19, v51
	v_add_f16_e32 v48, v48, v52
	v_fma_f16 v51, v25, s17, v51
	v_mul_f16_e32 v52, 0x3482, v1
	v_add_f16_e32 v53, v53, v55
	v_add_f16_e32 v51, v51, v54
	;; [unrolled: 10-line block ×3, first 2 shown]
	v_fma_f16 v58, v43, s12, v56
	v_mul_f16_e32 v59, 0xb08e, v47
	v_fma_f16 v56, v43, s12, -v56
	v_mul_f16_e32 v1, 0x3853, v1
	v_add_f16_e32 v58, v58, v61
	v_fma_f16 v61, v25, s2, v59
	v_add_f16_e32 v56, v56, v60
	v_fma_f16 v59, v25, s16, v59
	v_fma_f16 v60, v43, s14, v1
	v_mul_f16_e32 v47, 0x3abb, v47
	v_fma_f16 v1, v43, s14, -v1
	v_add_f16_e32 v59, v59, v62
	v_fma_f16 v62, v25, s13, v47
	v_add_f16_e32 v0, v1, v0
	v_fma_f16 v1, v25, s15, v47
	v_add_f16_e32 v25, v2, v7
	v_sub_f16_e32 v2, v2, v7
	v_add_f16_e32 v1, v1, v24
	v_add_f16_e32 v24, v26, v41
	v_mul_f16_e32 v7, 0xbbeb, v2
	v_sub_f16_e32 v26, v26, v41
	v_fma_f16 v41, v24, s12, v7
	v_add_f16_e32 v41, v41, v42
	v_mul_f16_e32 v42, 0xb08e, v25
	v_fma_f16 v7, v24, s12, -v7
	v_add_f16_e32 v7, v7, v19
	v_fma_f16 v19, v26, s2, v42
	v_add_f16_e32 v19, v19, v20
	v_mul_f16_e32 v20, 0x3482, v2
	v_fma_f16 v43, v26, s16, v42
	v_fma_f16 v42, v24, s21, v20
	v_fma_f16 v20, v24, s21, -v20
	v_mul_f16_e32 v47, 0xbbad, v25
	v_add_f16_e32 v20, v20, v48
	v_mul_f16_e32 v48, 0x3b47, v2
	v_add_f16_e32 v43, v43, v49
	v_add_f16_e32 v42, v42, v50
	v_fma_f16 v49, v26, s20, v47
	v_fma_f16 v47, v26, s22, v47
	;; [unrolled: 1-line block ×3, first 2 shown]
	v_fma_f16 v48, v24, s4, -v48
	v_add_f16_e32 v47, v47, v51
	v_mul_f16_e32 v51, 0x36a6, v25
	v_add_f16_e32 v48, v48, v52
	v_mul_f16_e32 v52, 0xb853, v2
	v_add_f16_e32 v49, v49, v53
	v_add_f16_e32 v50, v50, v54
	v_fma_f16 v53, v26, s3, v51
	v_fma_f16 v51, v26, s5, v51
	;; [unrolled: 1-line block ×3, first 2 shown]
	v_fma_f16 v52, v24, s14, -v52
	v_mul_f16_e32 v2, 0xba0c, v2
	v_add_f16_e32 v51, v51, v55
	v_mul_f16_e32 v55, 0x3abb, v25
	v_add_f16_e32 v52, v52, v56
	v_fma_f16 v56, v24, s18, v2
	v_mul_f16_e32 v25, 0xb93d, v25
	v_fma_f16 v2, v24, s18, -v2
	v_add_f16_e32 v0, v2, v0
	v_fma_f16 v2, v26, s17, v25
	v_add_f16_e32 v24, v3, v6
	v_sub_f16_e32 v3, v3, v6
	v_add_f16_e32 v1, v2, v1
	v_add_f16_e32 v2, v27, v30
	v_mul_f16_e32 v6, 0xba0c, v3
	v_add_f16_e32 v53, v53, v57
	v_add_f16_e32 v54, v54, v58
	v_fma_f16 v57, v26, s15, v55
	v_fma_f16 v55, v26, s13, v55
	;; [unrolled: 1-line block ×3, first 2 shown]
	v_sub_f16_e32 v25, v27, v30
	v_fma_f16 v26, v2, s18, v6
	v_mul_f16_e32 v27, 0xb93d, v24
	v_fma_f16 v6, v2, s18, -v6
	v_add_f16_e32 v6, v6, v7
	v_fma_f16 v7, v25, s17, v27
	v_add_f16_e32 v7, v7, v19
	v_mul_f16_e32 v19, 0x3beb, v3
	v_add_f16_e32 v26, v26, v41
	v_fma_f16 v30, v25, s19, v27
	v_fma_f16 v27, v2, s12, v19
	v_mul_f16_e32 v41, 0xb08e, v24
	v_fma_f16 v19, v2, s12, -v19
	v_add_f16_e32 v27, v27, v42
	v_fma_f16 v42, v25, s2, v41
	v_add_f16_e32 v19, v19, v20
	v_fma_f16 v20, v25, s16, v41
	v_mul_f16_e32 v41, 0xb853, v3
	v_add_f16_e32 v30, v30, v43
	v_fma_f16 v43, v2, s14, v41
	v_fma_f16 v41, v2, s14, -v41
	v_add_f16_e32 v20, v20, v47
	v_mul_f16_e32 v47, 0x3abb, v24
	v_add_f16_e32 v41, v41, v48
	v_mul_f16_e32 v48, 0xb482, v3
	v_add_f16_e32 v42, v42, v49
	v_add_f16_e32 v43, v43, v50
	v_fma_f16 v49, v25, s15, v47
	v_fma_f16 v47, v25, s13, v47
	;; [unrolled: 1-line block ×3, first 2 shown]
	v_fma_f16 v48, v2, s21, -v48
	v_mul_f16_e32 v3, 0x3b47, v3
	v_add_f16_e32 v47, v47, v51
	v_mul_f16_e32 v51, 0xbbad, v24
	v_add_f16_e32 v48, v48, v52
	v_fma_f16 v52, v2, s4, v3
	v_mul_f16_e32 v24, 0x36a6, v24
	v_fma_f16 v2, v2, s4, -v3
	v_add_f16_e32 v0, v2, v0
	v_fma_f16 v2, v25, s5, v24
	v_add_f16_e32 v3, v4, v5
	v_sub_f16_e32 v4, v4, v5
	v_add_f16_e32 v1, v2, v1
	v_add_f16_e32 v2, v28, v29
	v_mul_f16_e32 v5, 0xb482, v4
	v_add_f16_e32 v49, v49, v53
	v_add_f16_e32 v50, v50, v54
	v_fma_f16 v53, v25, s22, v51
	v_fma_f16 v51, v25, s20, v51
	;; [unrolled: 1-line block ×4, first 2 shown]
	v_sub_f16_e32 v24, v28, v29
	v_add_f16_e32 v25, v25, v26
	v_mul_f16_e32 v26, 0xbbad, v3
	v_fma_f16 v5, v2, s21, -v5
	v_add_f16_e32 v5, v5, v6
	v_fma_f16 v6, v24, s20, v26
	v_add_f16_e32 v6, v6, v7
	v_mul_f16_e32 v7, 0x3853, v4
	v_fma_f16 v28, v24, s22, v26
	v_fma_f16 v26, v2, s14, v7
	v_add_f16_e32 v26, v26, v27
	v_mul_f16_e32 v27, 0x3abb, v3
	v_fma_f16 v7, v2, s14, -v7
	v_add_f16_e32 v7, v7, v19
	v_fma_f16 v19, v24, s15, v27
	v_add_f16_e32 v19, v19, v20
	v_mul_f16_e32 v20, 0xba0c, v4
	v_fma_f16 v29, v24, s13, v27
	v_fma_f16 v27, v2, s18, v20
	v_fma_f16 v20, v2, s18, -v20
	v_add_f16_e32 v28, v28, v30
	v_mul_f16_e32 v30, 0xb93d, v3
	v_add_f16_e32 v20, v20, v41
	v_mul_f16_e32 v41, 0x3b47, v4
	v_add_f16_e32 v29, v29, v42
	v_add_f16_e32 v27, v27, v43
	v_fma_f16 v42, v24, s19, v30
	v_fma_f16 v30, v24, s17, v30
	;; [unrolled: 1-line block ×3, first 2 shown]
	v_fma_f16 v41, v2, s4, -v41
	v_mul_f16_e32 v4, 0xbbeb, v4
	v_add_f16_e32 v55, v55, v59
	v_add_f16_e32 v30, v30, v47
	v_mul_f16_e32 v47, 0x36a6, v3
	v_add_f16_e32 v41, v41, v48
	v_fma_f16 v48, v2, s12, v4
	v_mul_f16_e32 v3, 0xb08e, v3
	v_fma_f16 v2, v2, s12, -v4
	v_add_f16_e32 v61, v61, v63
	v_add_f16_e32 v60, v60, v64
	;; [unrolled: 1-line block ×5, first 2 shown]
	v_fma_f16 v49, v24, s3, v47
	v_fma_f16 v47, v24, s5, v47
	v_add_f16_e32 v0, v2, v0
	v_fma_f16 v2, v24, s2, v3
	v_add_f16_e32 v57, v57, v61
	v_add_f16_e32 v56, v56, v60
	;; [unrolled: 1-line block ×9, first 2 shown]
	v_fma_f16 v50, v24, s16, v3
	v_pack_b32_f16 v2, v44, v45
	v_pack_b32_f16 v3, v25, v28
	;; [unrolled: 1-line block ×4, first 2 shown]
	v_add_f16_e32 v49, v49, v53
	v_add_f16_e32 v48, v48, v52
	;; [unrolled: 1-line block ×3, first 2 shown]
	s_waitcnt lgkmcnt(0)
	; wave barrier
	ds_write2_b32 v46, v2, v3 offset1:4
	v_pack_b32_f16 v2, v26, v29
	v_pack_b32_f16 v3, v27, v42
	ds_write2_b32 v46, v0, v1 offset0:24 offset1:28
	v_pack_b32_f16 v0, v20, v30
	v_pack_b32_f16 v1, v7, v19
	ds_write2_b32 v46, v2, v3 offset0:8 offset1:12
	;; [unrolled: 3-line block ×3, first 2 shown]
	v_pack_b32_f16 v0, v5, v6
	ds_write2_b32 v46, v2, v3 offset0:16 offset1:20
	ds_write_b32 v46, v0 offset:160
	s_waitcnt lgkmcnt(0)
	; wave barrier
	s_waitcnt lgkmcnt(0)
	ds_read2_b32 v[0:1], v31 offset1:44
	ds_read2_b32 v[2:3], v31 offset0:88 offset1:132
	ds_read2_b32 v[4:5], v31 offset0:176 offset1:220
	;; [unrolled: 1-line block ×4, first 2 shown]
	s_waitcnt lgkmcnt(4)
	v_lshrrev_b32_e32 v24, 16, v1
	v_mul_f16_sdwa v45, v8, v24 dst_sel:DWORD dst_unused:UNUSED_PAD src0_sel:WORD_1 src1_sel:DWORD
	s_waitcnt lgkmcnt(3)
	v_lshrrev_b32_e32 v25, 16, v2
	v_fma_f16 v45, v8, v1, v45
	v_mul_f16_sdwa v1, v8, v1 dst_sel:DWORD dst_unused:UNUSED_PAD src0_sel:WORD_1 src1_sel:DWORD
	v_fma_f16 v1, v8, v24, -v1
	v_mul_f16_sdwa v8, v9, v25 dst_sel:DWORD dst_unused:UNUSED_PAD src0_sel:WORD_1 src1_sel:DWORD
	v_lshrrev_b32_e32 v26, 16, v3
	v_fma_f16 v8, v9, v2, v8
	v_mul_f16_sdwa v2, v9, v2 dst_sel:DWORD dst_unused:UNUSED_PAD src0_sel:WORD_1 src1_sel:DWORD
	v_fma_f16 v2, v9, v25, -v2
	v_mul_f16_sdwa v9, v10, v26 dst_sel:DWORD dst_unused:UNUSED_PAD src0_sel:WORD_1 src1_sel:DWORD
	s_waitcnt lgkmcnt(2)
	v_lshrrev_b32_e32 v27, 16, v4
	v_fma_f16 v9, v10, v3, v9
	v_mul_f16_sdwa v3, v10, v3 dst_sel:DWORD dst_unused:UNUSED_PAD src0_sel:WORD_1 src1_sel:DWORD
	v_fma_f16 v3, v10, v26, -v3
	v_mul_f16_sdwa v10, v11, v27 dst_sel:DWORD dst_unused:UNUSED_PAD src0_sel:WORD_1 src1_sel:DWORD
	v_lshrrev_b32_e32 v28, 16, v5
	v_fma_f16 v10, v11, v4, v10
	v_mul_f16_sdwa v4, v11, v4 dst_sel:DWORD dst_unused:UNUSED_PAD src0_sel:WORD_1 src1_sel:DWORD
	v_fma_f16 v4, v11, v27, -v4
	v_mul_f16_sdwa v11, v12, v28 dst_sel:DWORD dst_unused:UNUSED_PAD src0_sel:WORD_1 src1_sel:DWORD
	s_waitcnt lgkmcnt(1)
	v_lshrrev_b32_e32 v30, 16, v6
	v_fma_f16 v11, v12, v5, v11
	v_mul_f16_sdwa v5, v12, v5 dst_sel:DWORD dst_unused:UNUSED_PAD src0_sel:WORD_1 src1_sel:DWORD
	v_fma_f16 v5, v12, v28, -v5
	v_mul_f16_sdwa v12, v13, v30 dst_sel:DWORD dst_unused:UNUSED_PAD src0_sel:WORD_1 src1_sel:DWORD
	v_lshrrev_b32_e32 v41, 16, v7
	v_fma_f16 v12, v13, v6, v12
	v_mul_f16_sdwa v6, v13, v6 dst_sel:DWORD dst_unused:UNUSED_PAD src0_sel:WORD_1 src1_sel:DWORD
	ds_read_b32 v29, v31 offset:1760
	v_fma_f16 v6, v13, v30, -v6
	v_mul_f16_sdwa v13, v14, v41 dst_sel:DWORD dst_unused:UNUSED_PAD src0_sel:WORD_1 src1_sel:DWORD
	s_waitcnt lgkmcnt(1)
	v_lshrrev_b32_e32 v42, 16, v19
	v_fma_f16 v13, v14, v7, v13
	v_mul_f16_sdwa v7, v14, v7 dst_sel:DWORD dst_unused:UNUSED_PAD src0_sel:WORD_1 src1_sel:DWORD
	v_fma_f16 v7, v14, v41, -v7
	v_mul_f16_sdwa v14, v15, v42 dst_sel:DWORD dst_unused:UNUSED_PAD src0_sel:WORD_1 src1_sel:DWORD
	v_lshrrev_b32_e32 v43, 16, v20
	v_fma_f16 v14, v15, v19, v14
	v_mul_f16_sdwa v19, v15, v19 dst_sel:DWORD dst_unused:UNUSED_PAD src0_sel:WORD_1 src1_sel:DWORD
	v_fma_f16 v15, v15, v42, -v19
	v_mul_f16_sdwa v19, v21, v43 dst_sel:DWORD dst_unused:UNUSED_PAD src0_sel:WORD_1 src1_sel:DWORD
	s_waitcnt lgkmcnt(0)
	v_lshrrev_b32_e32 v44, 16, v29
	v_fma_f16 v19, v21, v20, v19
	v_mul_f16_sdwa v20, v21, v20 dst_sel:DWORD dst_unused:UNUSED_PAD src0_sel:WORD_1 src1_sel:DWORD
	v_fma_f16 v20, v21, v43, -v20
	v_mul_f16_sdwa v21, v22, v44 dst_sel:DWORD dst_unused:UNUSED_PAD src0_sel:WORD_1 src1_sel:DWORD
	v_mul_f16_sdwa v24, v22, v29 dst_sel:DWORD dst_unused:UNUSED_PAD src0_sel:WORD_1 src1_sel:DWORD
	v_fma_f16 v21, v22, v29, v21
	v_fma_f16 v22, v22, v44, -v24
	v_add_f16_e32 v24, v0, v45
	v_add_f16_sdwa v25, v0, v1 dst_sel:DWORD dst_unused:UNUSED_PAD src0_sel:WORD_1 src1_sel:DWORD
	v_add_f16_e32 v24, v24, v8
	v_add_f16_e32 v25, v25, v2
	;; [unrolled: 1-line block ×17, first 2 shown]
	v_sub_f16_e32 v1, v1, v22
	v_add_f16_e32 v24, v24, v21
	v_add_f16_e32 v25, v25, v22
	;; [unrolled: 1-line block ×3, first 2 shown]
	v_sub_f16_e32 v21, v45, v21
	v_mul_f16_e32 v22, 0xb853, v1
	v_mul_f16_e32 v29, 0x3abb, v27
	;; [unrolled: 1-line block ×10, first 2 shown]
	v_fma_f16 v28, v26, s14, v22
	v_fma_f16 v30, v21, s15, v29
	v_fma_f16 v22, v26, s14, -v22
	v_fma_f16 v29, v21, s13, v29
	v_fma_f16 v42, v26, s4, v41
	v_fma_f16 v44, v21, s5, v43
	v_fma_f16 v41, v26, s4, -v41
	v_fma_f16 v43, v21, s3, v43
	;; [unrolled: 4-line block ×5, first 2 shown]
	v_add_f16_e32 v26, v2, v20
	v_sub_f16_e32 v2, v2, v20
	v_add_f16_e32 v28, v0, v28
	v_add_f16_sdwa v30, v0, v30 dst_sel:DWORD dst_unused:UNUSED_PAD src0_sel:WORD_1 src1_sel:DWORD
	v_add_f16_e32 v22, v0, v22
	v_add_f16_sdwa v29, v0, v29 dst_sel:DWORD dst_unused:UNUSED_PAD src0_sel:WORD_1 src1_sel:DWORD
	;; [unrolled: 2-line block ×10, first 2 shown]
	v_add_f16_e32 v21, v8, v19
	v_sub_f16_e32 v8, v8, v19
	v_mul_f16_e32 v19, 0xbb47, v2
	v_fma_f16 v20, v21, s4, v19
	v_mul_f16_e32 v27, 0x36a6, v26
	v_fma_f16 v19, v21, s4, -v19
	v_add_f16_e32 v20, v20, v28
	v_fma_f16 v28, v8, s5, v27
	v_add_f16_e32 v19, v19, v22
	v_fma_f16 v22, v8, s3, v27
	v_mul_f16_e32 v27, 0xba0c, v2
	v_add_f16_e32 v28, v28, v30
	v_add_f16_e32 v22, v22, v29
	v_fma_f16 v29, v21, s18, v27
	v_mul_f16_e32 v30, 0xb93d, v26
	v_fma_f16 v27, v21, s18, -v27
	v_add_f16_e32 v29, v29, v42
	v_fma_f16 v42, v8, s19, v30
	v_add_f16_e32 v27, v27, v41
	v_fma_f16 v30, v8, s17, v30
	v_mul_f16_e32 v41, 0x3482, v2
	v_add_f16_e32 v42, v42, v44
	v_add_f16_e32 v30, v30, v43
	;; [unrolled: 10-line block ×3, first 2 shown]
	v_fma_f16 v47, v21, s12, v45
	v_mul_f16_e32 v48, 0xb08e, v26
	v_fma_f16 v45, v21, s12, -v45
	v_mul_f16_e32 v2, 0x3853, v2
	v_add_f16_e32 v47, v47, v50
	v_fma_f16 v50, v8, s2, v48
	v_add_f16_e32 v45, v45, v49
	v_fma_f16 v48, v8, s16, v48
	v_fma_f16 v49, v21, s14, v2
	v_mul_f16_e32 v26, 0x3abb, v26
	v_fma_f16 v2, v21, s14, -v2
	v_add_f16_e32 v48, v48, v51
	v_fma_f16 v51, v8, s13, v26
	v_add_f16_e32 v1, v2, v1
	v_fma_f16 v2, v8, s15, v26
	v_add_f16_e32 v8, v3, v15
	v_sub_f16_e32 v3, v3, v15
	v_add_f16_e32 v0, v2, v0
	v_add_f16_e32 v2, v9, v14
	v_sub_f16_e32 v9, v9, v14
	v_mul_f16_e32 v14, 0xbbeb, v3
	v_fma_f16 v15, v2, s12, v14
	v_add_f16_e32 v15, v15, v20
	v_mul_f16_e32 v20, 0xb08e, v8
	v_fma_f16 v14, v2, s12, -v14
	v_fma_f16 v21, v9, s16, v20
	v_add_f16_e32 v14, v14, v19
	v_fma_f16 v19, v9, s2, v20
	v_mul_f16_e32 v20, 0x3482, v3
	v_add_f16_e32 v19, v19, v22
	v_fma_f16 v22, v2, s21, v20
	v_fma_f16 v20, v2, s21, -v20
	v_mul_f16_e32 v26, 0xbbad, v8
	v_add_f16_e32 v20, v20, v27
	v_mul_f16_e32 v27, 0x3b47, v3
	v_add_f16_e32 v21, v21, v28
	v_add_f16_e32 v22, v22, v29
	v_fma_f16 v28, v9, s20, v26
	v_fma_f16 v26, v9, s22, v26
	;; [unrolled: 1-line block ×3, first 2 shown]
	v_fma_f16 v27, v2, s4, -v27
	v_add_f16_e32 v26, v26, v30
	v_mul_f16_e32 v30, 0x36a6, v8
	v_add_f16_e32 v27, v27, v41
	v_mul_f16_e32 v41, 0xb853, v3
	v_add_f16_e32 v28, v28, v42
	v_add_f16_e32 v29, v29, v43
	v_fma_f16 v42, v9, s3, v30
	v_fma_f16 v30, v9, s5, v30
	;; [unrolled: 1-line block ×3, first 2 shown]
	v_fma_f16 v41, v2, s14, -v41
	v_mul_f16_e32 v3, 0xba0c, v3
	v_add_f16_e32 v30, v30, v44
	v_mul_f16_e32 v44, 0x3abb, v8
	v_add_f16_e32 v41, v41, v45
	v_fma_f16 v45, v2, s18, v3
	v_mul_f16_e32 v8, 0xb93d, v8
	v_fma_f16 v2, v2, s18, -v3
	v_add_f16_e32 v1, v2, v1
	v_fma_f16 v2, v9, s17, v8
	v_add_f16_e32 v3, v4, v7
	v_sub_f16_e32 v4, v4, v7
	v_add_f16_e32 v0, v2, v0
	v_add_f16_e32 v2, v10, v13
	v_mul_f16_e32 v7, 0xba0c, v4
	v_add_f16_e32 v42, v42, v46
	v_add_f16_e32 v43, v43, v47
	v_fma_f16 v46, v9, s15, v44
	v_fma_f16 v44, v9, s13, v44
	;; [unrolled: 1-line block ×4, first 2 shown]
	v_fma_f16 v7, v2, s18, -v7
	v_sub_f16_e32 v8, v10, v13
	v_mul_f16_e32 v10, 0xb93d, v3
	v_add_f16_e32 v7, v7, v14
	v_mul_f16_e32 v14, 0x3beb, v4
	v_add_f16_e32 v9, v9, v15
	v_fma_f16 v13, v8, s19, v10
	v_fma_f16 v10, v8, s17, v10
	;; [unrolled: 1-line block ×3, first 2 shown]
	v_fma_f16 v14, v2, s12, -v14
	v_add_f16_e32 v10, v10, v19
	v_mul_f16_e32 v19, 0xb08e, v3
	v_add_f16_e32 v14, v14, v20
	v_mul_f16_e32 v20, 0xb853, v4
	v_add_f16_e32 v13, v13, v21
	v_add_f16_e32 v15, v15, v22
	v_fma_f16 v21, v8, s2, v19
	v_fma_f16 v19, v8, s16, v19
	;; [unrolled: 1-line block ×3, first 2 shown]
	v_fma_f16 v20, v2, s14, -v20
	v_add_f16_e32 v19, v19, v26
	v_mul_f16_e32 v26, 0x3abb, v3
	v_add_f16_e32 v20, v20, v27
	v_mul_f16_e32 v27, 0xb482, v4
	v_add_f16_e32 v21, v21, v28
	v_add_f16_e32 v22, v22, v29
	v_fma_f16 v28, v8, s15, v26
	v_fma_f16 v26, v8, s13, v26
	;; [unrolled: 1-line block ×3, first 2 shown]
	v_fma_f16 v27, v2, s21, -v27
	v_mul_f16_e32 v4, 0x3b47, v4
	v_add_f16_e32 v26, v26, v30
	v_mul_f16_e32 v30, 0xbbad, v3
	v_add_f16_e32 v27, v27, v41
	v_fma_f16 v41, v2, s4, v4
	v_mul_f16_e32 v3, 0x36a6, v3
	v_fma_f16 v2, v2, s4, -v4
	v_add_f16_e32 v29, v29, v43
	v_fma_f16 v43, v8, s3, v3
	v_add_f16_e32 v1, v2, v1
	v_fma_f16 v2, v8, s5, v3
	v_add_f16_e32 v3, v5, v6
	v_sub_f16_e32 v5, v5, v6
	v_add_f16_e32 v0, v2, v0
	v_add_f16_e32 v2, v11, v12
	v_mul_f16_e32 v6, 0xb482, v5
	v_add_f16_e32 v28, v28, v42
	v_fma_f16 v42, v8, s22, v30
	v_fma_f16 v30, v8, s20, v30
	;; [unrolled: 1-line block ×3, first 2 shown]
	v_sub_f16_e32 v4, v11, v12
	v_add_f16_e32 v8, v8, v9
	v_mul_f16_e32 v9, 0xbbad, v3
	v_fma_f16 v6, v2, s21, -v6
	v_fma_f16 v11, v4, s22, v9
	v_add_f16_e32 v6, v6, v7
	v_fma_f16 v7, v4, s20, v9
	v_mul_f16_e32 v9, 0x3853, v5
	v_add_f16_e32 v7, v7, v10
	v_fma_f16 v10, v2, s14, v9
	v_fma_f16 v9, v2, s14, -v9
	v_mul_f16_e32 v12, 0x3abb, v3
	v_add_f16_e32 v9, v9, v14
	v_mul_f16_e32 v14, 0xba0c, v5
	v_add_f16_e32 v11, v11, v13
	v_add_f16_e32 v10, v10, v15
	v_fma_f16 v13, v4, s13, v12
	v_fma_f16 v12, v4, s15, v12
	;; [unrolled: 1-line block ×3, first 2 shown]
	v_fma_f16 v14, v2, s18, -v14
	v_add_f16_e32 v12, v12, v19
	v_mul_f16_e32 v19, 0xb93d, v3
	v_add_f16_e32 v14, v14, v20
	v_mul_f16_e32 v20, 0x3b47, v5
	v_add_f16_e32 v13, v13, v21
	v_add_f16_e32 v15, v15, v22
	v_fma_f16 v21, v4, s19, v19
	v_fma_f16 v19, v4, s17, v19
	;; [unrolled: 1-line block ×3, first 2 shown]
	v_fma_f16 v20, v2, s4, -v20
	v_mul_f16_e32 v5, 0xbbeb, v5
	v_add_f16_e32 v44, v44, v48
	v_add_f16_e32 v19, v19, v26
	v_mul_f16_e32 v26, 0x36a6, v3
	v_add_f16_e32 v20, v20, v27
	v_fma_f16 v27, v2, s12, v5
	v_mul_f16_e32 v3, 0xb08e, v3
	v_fma_f16 v2, v2, s12, -v5
	v_add_f16_e32 v50, v50, v52
	v_add_f16_e32 v49, v49, v53
	;; [unrolled: 1-line block ×5, first 2 shown]
	v_fma_f16 v28, v4, s3, v26
	v_fma_f16 v26, v4, s5, v26
	v_add_f16_e32 v1, v2, v1
	v_fma_f16 v2, v4, s2, v3
	v_add_f16_e32 v46, v46, v50
	v_add_f16_e32 v45, v45, v49
	;; [unrolled: 1-line block ×5, first 2 shown]
	v_fma_f16 v29, v4, s16, v3
	v_add_f16_e32 v0, v2, v0
	v_pack_b32_f16 v2, v24, v25
	v_pack_b32_f16 v3, v8, v11
	v_add_f16_e32 v42, v42, v46
	v_add_f16_e32 v41, v41, v45
	;; [unrolled: 1-line block ×3, first 2 shown]
	ds_write2_b32 v31, v2, v3 offset1:44
	v_pack_b32_f16 v2, v10, v13
	v_pack_b32_f16 v3, v15, v21
	;; [unrolled: 1-line block ×4, first 2 shown]
	v_add_f16_e32 v28, v28, v42
	v_add_f16_e32 v27, v27, v41
	;; [unrolled: 1-line block ×3, first 2 shown]
	ds_write2_b32 v31, v2, v3 offset0:88 offset1:132
	ds_write2_b32 v23, v0, v1 offset0:8 offset1:52
	v_pack_b32_f16 v0, v14, v19
	v_pack_b32_f16 v1, v9, v12
	v_pack_b32_f16 v2, v22, v28
	v_pack_b32_f16 v3, v27, v29
	ds_write2_b32 v23, v0, v1 offset0:96 offset1:140
	v_pack_b32_f16 v0, v6, v7
	ds_write2_b32 v31, v2, v3 offset0:176 offset1:220
	ds_write_b32 v31, v0 offset:1760
	s_waitcnt lgkmcnt(0)
	; wave barrier
	s_waitcnt lgkmcnt(0)
	ds_read2_b32 v[0:1], v31 offset1:44
	s_mov_b32 s12, 0x6be69c90
	s_mov_b32 s13, 0x3f60ecf5
	v_mad_u64_u32 v[4:5], s[2:3], s10, v18, 0
	s_waitcnt lgkmcnt(0)
	v_lshrrev_b32_e32 v7, 16, v0
	v_mul_f16_sdwa v2, v40, v7 dst_sel:DWORD dst_unused:UNUSED_PAD src0_sel:WORD_1 src1_sel:DWORD
	v_fma_f16 v2, v40, v0, v2
	v_cvt_f32_f16_e32 v2, v2
	s_movk_i32 s10, 0x1ff
	v_mad_u64_u32 v[5:6], s[2:3], s11, v18, v[5:6]
	v_cvt_f64_f32_e32 v[2:3], v2
	s_movk_i32 s11, 0xffe
	v_mul_f16_sdwa v0, v40, v0 dst_sel:DWORD dst_unused:UNUSED_PAD src0_sel:WORD_1 src1_sel:DWORD
	v_fma_f16 v0, v40, v7, -v0
	v_mul_f64 v[2:3], v[2:3], s[12:13]
	v_cvt_f32_f16_e32 v0, v0
	s_movk_i32 s14, 0x40f
	s_mov_b32 s15, 0x8000
	v_lshlrev_b64 v[4:5], 2, v[4:5]
	v_and_or_b32 v2, v3, s10, v2
	v_cmp_ne_u32_e32 vcc, 0, v2
	v_cndmask_b32_e64 v2, 0, 1, vcc
	v_lshrrev_b32_e32 v6, 8, v3
	v_bfe_u32 v8, v3, 20, 11
	v_and_or_b32 v2, v6, s11, v2
	v_sub_u32_e32 v9, 0x3f1, v8
	v_or_b32_e32 v6, 0x1000, v2
	v_med3_i32 v9, v9, 0, 13
	v_lshrrev_b32_e32 v10, v9, v6
	v_lshlrev_b32_e32 v9, v9, v10
	v_cmp_ne_u32_e32 vcc, v9, v6
	v_cndmask_b32_e64 v6, 0, 1, vcc
	v_add_u32_e32 v9, 0xfffffc10, v8
	v_or_b32_e32 v6, v10, v6
	v_lshl_or_b32 v8, v9, 12, v2
	v_cmp_gt_i32_e32 vcc, 1, v9
	v_cndmask_b32_e32 v6, v8, v6, vcc
	v_and_b32_e32 v8, 7, v6
	v_cmp_lt_i32_e32 vcc, 5, v8
	v_cmp_eq_u32_e64 s[2:3], 3, v8
	v_cvt_f64_f32_e32 v[7:8], v0
	v_lshrrev_b32_e32 v6, 2, v6
	s_or_b64 vcc, s[2:3], vcc
	v_addc_co_u32_e32 v10, vcc, 0, v6, vcc
	v_mul_f64 v[7:8], v[7:8], s[12:13]
	v_mov_b32_e32 v6, 0x7c00
	v_cmp_gt_i32_e32 vcc, 31, v9
	v_cndmask_b32_e32 v0, v6, v10, vcc
	v_cmp_ne_u32_e32 vcc, 0, v2
	v_cndmask_b32_e64 v2, 0, 1, vcc
	v_lshl_or_b32 v2, v2, 9, v6
	v_cmp_eq_u32_e32 vcc, s14, v9
	v_cndmask_b32_e32 v0, v0, v2, vcc
	v_lshrrev_b32_e32 v2, 16, v3
	v_and_or_b32 v11, v2, s15, v0
	v_and_or_b32 v0, v8, s10, v7
	v_cmp_ne_u32_e32 vcc, 0, v0
	v_cndmask_b32_e64 v0, 0, 1, vcc
	v_lshrrev_b32_e32 v2, 8, v8
	v_bfe_u32 v3, v8, 20, 11
	v_and_or_b32 v0, v2, s11, v0
	v_sub_u32_e32 v7, 0x3f1, v3
	v_or_b32_e32 v2, 0x1000, v0
	v_med3_i32 v7, v7, 0, 13
	v_lshrrev_b32_e32 v9, v7, v2
	v_lshlrev_b32_e32 v7, v7, v9
	v_cmp_ne_u32_e32 vcc, v7, v2
	v_cndmask_b32_e64 v2, 0, 1, vcc
	v_add_u32_e32 v3, 0xfffffc10, v3
	v_or_b32_e32 v2, v9, v2
	v_lshl_or_b32 v7, v3, 12, v0
	v_cmp_gt_i32_e32 vcc, 1, v3
	v_cndmask_b32_e32 v2, v7, v2, vcc
	v_and_b32_e32 v7, 7, v2
	v_cmp_lt_i32_e32 vcc, 5, v7
	v_cmp_eq_u32_e64 s[2:3], 3, v7
	v_lshrrev_b32_e32 v2, 2, v2
	s_or_b64 vcc, s[2:3], vcc
	v_addc_co_u32_e32 v2, vcc, 0, v2, vcc
	v_cmp_gt_i32_e32 vcc, 31, v3
	v_cndmask_b32_e32 v2, v6, v2, vcc
	v_cmp_ne_u32_e32 vcc, 0, v0
	v_cndmask_b32_e64 v0, 0, 1, vcc
	v_lshl_or_b32 v0, v0, 9, v6
	v_cmp_eq_u32_e32 vcc, s14, v3
	v_mad_u64_u32 v[9:10], s[2:3], s8, v39, 0
	v_cndmask_b32_e32 v12, v2, v0, vcc
	ds_read2_b32 v[2:3], v31 offset0:121 offset1:165
	v_mov_b32_e32 v0, v10
	v_lshrrev_b32_e32 v13, 16, v8
	v_mad_u64_u32 v[7:8], s[2:3], s9, v39, v[0:1]
	s_waitcnt lgkmcnt(0)
	v_lshrrev_b32_e32 v0, 16, v2
	v_mul_f16_sdwa v8, v38, v0 dst_sel:DWORD dst_unused:UNUSED_PAD src0_sel:WORD_1 src1_sel:DWORD
	v_fma_f16 v8, v38, v2, v8
	v_cvt_f32_f16_e32 v8, v8
	v_mov_b32_e32 v10, v7
	v_and_or_b32 v12, v13, s15, v12
	v_and_b32_e32 v11, 0xffff, v11
	v_cvt_f64_f32_e32 v[7:8], v8
	v_lshl_or_b32 v11, v12, 16, v11
	v_mov_b32_e32 v12, s7
	v_add_co_u32_e32 v13, vcc, s6, v4
	v_mul_f64 v[7:8], v[7:8], s[12:13]
	v_addc_co_u32_e32 v12, vcc, v12, v5, vcc
	v_lshlrev_b64 v[4:5], 2, v[9:10]
	v_mul_f16_sdwa v2, v38, v2 dst_sel:DWORD dst_unused:UNUSED_PAD src0_sel:WORD_1 src1_sel:DWORD
	v_add_co_u32_e32 v9, vcc, v13, v4
	v_addc_co_u32_e32 v10, vcc, v12, v5, vcc
	v_and_or_b32 v4, v8, s10, v7
	v_cmp_ne_u32_e32 vcc, 0, v4
	v_cndmask_b32_e64 v4, 0, 1, vcc
	v_lshrrev_b32_e32 v5, 8, v8
	v_and_or_b32 v7, v5, s11, v4
	v_bfe_u32 v5, v8, 20, 11
	global_store_dword v[9:10], v11, off
	v_sub_u32_e32 v11, 0x3f1, v5
	v_or_b32_e32 v4, 0x1000, v7
	v_med3_i32 v11, v11, 0, 13
	v_lshrrev_b32_e32 v12, v11, v4
	v_lshlrev_b32_e32 v11, v11, v12
	v_cmp_ne_u32_e32 vcc, v11, v4
	v_fma_f16 v0, v38, v0, -v2
	v_cndmask_b32_e64 v4, 0, 1, vcc
	v_add_u32_e32 v13, 0xfffffc10, v5
	v_cvt_f32_f16_e32 v0, v0
	v_or_b32_e32 v4, v12, v4
	v_lshl_or_b32 v5, v13, 12, v7
	v_cmp_gt_i32_e32 vcc, 1, v13
	v_cndmask_b32_e32 v4, v5, v4, vcc
	v_and_b32_e32 v5, 7, v4
	v_cmp_lt_i32_e32 vcc, 5, v5
	v_cmp_eq_u32_e64 s[2:3], 3, v5
	v_lshrrev_b32_e32 v2, 2, v4
	v_cvt_f64_f32_e32 v[4:5], v0
	s_or_b64 vcc, s[2:3], vcc
	v_addc_co_u32_e32 v0, vcc, 0, v2, vcc
	v_mul_f64 v[11:12], v[4:5], s[12:13]
	v_cmp_gt_i32_e32 vcc, 31, v13
	v_cndmask_b32_e32 v0, v6, v0, vcc
	v_cmp_ne_u32_e32 vcc, 0, v7
	v_cndmask_b32_e64 v2, 0, 1, vcc
	v_lshl_or_b32 v2, v2, 9, v6
	v_cmp_eq_u32_e32 vcc, s14, v13
	v_cndmask_b32_e32 v0, v0, v2, vcc
	v_lshrrev_b32_e32 v2, 16, v8
	v_and_or_b32 v0, v2, s15, v0
	v_and_or_b32 v2, v12, s10, v11
	v_cmp_ne_u32_e32 vcc, 0, v2
	v_cndmask_b32_e64 v2, 0, 1, vcc
	v_lshrrev_b32_e32 v4, 8, v12
	v_bfe_u32 v5, v12, 20, 11
	v_and_or_b32 v2, v4, s11, v2
	v_sub_u32_e32 v7, 0x3f1, v5
	v_or_b32_e32 v4, 0x1000, v2
	v_med3_i32 v7, v7, 0, 13
	v_lshrrev_b32_e32 v8, v7, v4
	v_lshlrev_b32_e32 v7, v7, v8
	v_cmp_ne_u32_e32 vcc, v7, v4
	v_cndmask_b32_e64 v4, 0, 1, vcc
	v_add_u32_e32 v7, 0xfffffc10, v5
	v_or_b32_e32 v4, v8, v4
	v_lshl_or_b32 v5, v7, 12, v2
	v_cmp_gt_i32_e32 vcc, 1, v7
	v_cndmask_b32_e32 v4, v5, v4, vcc
	v_and_b32_e32 v5, 7, v4
	v_cmp_lt_i32_e32 vcc, 5, v5
	v_cmp_eq_u32_e64 s[2:3], 3, v5
	v_lshrrev_b32_e32 v4, 2, v4
	s_or_b64 vcc, s[2:3], vcc
	v_addc_co_u32_e32 v4, vcc, 0, v4, vcc
	v_cmp_gt_i32_e32 vcc, 31, v7
	v_cndmask_b32_e32 v8, v6, v4, vcc
	v_add_u32_e32 v4, 0x200, v31
	ds_read2_b32 v[4:5], v4 offset0:114 offset1:158
	v_cmp_ne_u32_e32 vcc, 0, v2
	v_cndmask_b32_e64 v2, 0, 1, vcc
	v_lshl_or_b32 v2, v2, 9, v6
	v_cmp_eq_u32_e32 vcc, s14, v7
	v_cndmask_b32_e32 v2, v8, v2, vcc
	v_lshrrev_b32_e32 v7, 16, v12
	s_waitcnt lgkmcnt(0)
	v_lshrrev_b32_e32 v11, 16, v4
	v_and_or_b32 v2, v7, s15, v2
	v_mul_f16_sdwa v7, v36, v11 dst_sel:DWORD dst_unused:UNUSED_PAD src0_sel:WORD_1 src1_sel:DWORD
	v_fma_f16 v7, v36, v4, v7
	v_cvt_f32_f16_e32 v7, v7
	s_mul_i32 s2, s9, 0x79
	s_mul_hi_u32 s3, s8, 0x79
	s_add_i32 s3, s3, s2
	v_cvt_f64_f32_e32 v[7:8], v7
	s_mul_i32 s2, s8, 0x79
	v_and_b32_e32 v0, 0xffff, v0
	s_lshl_b64 s[6:7], s[2:3], 2
	v_mul_f64 v[7:8], v[7:8], s[12:13]
	v_lshl_or_b32 v0, v2, 16, v0
	v_mov_b32_e32 v2, s7
	v_add_co_u32_e32 v9, vcc, s6, v9
	v_addc_co_u32_e32 v10, vcc, v10, v2, vcc
	global_store_dword v[9:10], v0, off
	v_and_or_b32 v0, v8, s10, v7
	v_cmp_ne_u32_e32 vcc, 0, v0
	v_cndmask_b32_e64 v0, 0, 1, vcc
	v_lshrrev_b32_e32 v7, 8, v8
	v_bfe_u32 v12, v8, 20, 11
	v_and_or_b32 v0, v7, s11, v0
	v_sub_u32_e32 v13, 0x3f1, v12
	v_or_b32_e32 v7, 0x1000, v0
	v_med3_i32 v13, v13, 0, 13
	v_lshrrev_b32_e32 v14, v13, v7
	v_lshlrev_b32_e32 v13, v13, v14
	v_mul_f16_sdwa v4, v36, v4 dst_sel:DWORD dst_unused:UNUSED_PAD src0_sel:WORD_1 src1_sel:DWORD
	v_cmp_ne_u32_e32 vcc, v13, v7
	v_fma_f16 v4, v36, v11, -v4
	v_cndmask_b32_e64 v7, 0, 1, vcc
	v_add_u32_e32 v13, 0xfffffc10, v12
	v_cvt_f32_f16_e32 v4, v4
	v_or_b32_e32 v7, v14, v7
	v_lshl_or_b32 v12, v13, 12, v0
	v_cmp_gt_i32_e32 vcc, 1, v13
	v_cndmask_b32_e32 v7, v12, v7, vcc
	v_and_b32_e32 v12, 7, v7
	v_cmp_lt_i32_e32 vcc, 5, v12
	v_cmp_eq_u32_e64 s[2:3], 3, v12
	v_cvt_f64_f32_e32 v[11:12], v4
	v_lshrrev_b32_e32 v7, 2, v7
	s_or_b64 vcc, s[2:3], vcc
	v_addc_co_u32_e32 v4, vcc, 0, v7, vcc
	v_mul_f64 v[11:12], v[11:12], s[12:13]
	v_cmp_gt_i32_e32 vcc, 31, v13
	v_cndmask_b32_e32 v4, v6, v4, vcc
	v_cmp_ne_u32_e32 vcc, 0, v0
	v_cndmask_b32_e64 v0, 0, 1, vcc
	v_lshl_or_b32 v0, v0, 9, v6
	v_cmp_eq_u32_e32 vcc, s14, v13
	v_cndmask_b32_e32 v0, v4, v0, vcc
	v_lshrrev_b32_e32 v4, 16, v8
	v_and_or_b32 v0, v4, s15, v0
	v_and_or_b32 v4, v12, s10, v11
	v_cmp_ne_u32_e32 vcc, 0, v4
	v_cndmask_b32_e64 v4, 0, 1, vcc
	v_lshrrev_b32_e32 v7, 8, v12
	v_bfe_u32 v8, v12, 20, 11
	v_and_or_b32 v4, v7, s11, v4
	v_sub_u32_e32 v11, 0x3f1, v8
	v_or_b32_e32 v7, 0x1000, v4
	v_med3_i32 v11, v11, 0, 13
	v_lshrrev_b32_e32 v13, v11, v7
	v_lshlrev_b32_e32 v11, v11, v13
	v_cmp_ne_u32_e32 vcc, v11, v7
	v_cndmask_b32_e64 v7, 0, 1, vcc
	v_add_u32_e32 v11, 0xfffffc10, v8
	v_or_b32_e32 v7, v13, v7
	v_lshl_or_b32 v8, v11, 12, v4
	v_cmp_gt_i32_e32 vcc, 1, v11
	v_cndmask_b32_e32 v7, v8, v7, vcc
	v_and_b32_e32 v8, 7, v7
	v_cmp_lt_i32_e32 vcc, 5, v8
	v_cmp_eq_u32_e64 s[2:3], 3, v8
	v_lshrrev_b32_e32 v13, 2, v7
	ds_read2_b32 v[7:8], v23 offset0:107 offset1:151
	s_or_b64 vcc, s[2:3], vcc
	v_addc_co_u32_e32 v13, vcc, 0, v13, vcc
	v_cmp_gt_i32_e32 vcc, 31, v11
	s_waitcnt lgkmcnt(0)
	v_lshrrev_b32_e32 v18, 16, v7
	v_cndmask_b32_e32 v15, v6, v13, vcc
	v_mul_f16_sdwa v13, v37, v18 dst_sel:DWORD dst_unused:UNUSED_PAD src0_sel:WORD_1 src1_sel:DWORD
	v_fma_f16 v13, v37, v7, v13
	v_cvt_f32_f16_e32 v13, v13
	v_cmp_ne_u32_e32 vcc, 0, v4
	v_cndmask_b32_e64 v4, 0, 1, vcc
	v_lshl_or_b32 v4, v4, 9, v6
	v_cvt_f64_f32_e32 v[13:14], v13
	v_cmp_eq_u32_e32 vcc, s14, v11
	v_cndmask_b32_e32 v4, v15, v4, vcc
	v_lshrrev_b32_e32 v11, 16, v12
	v_and_or_b32 v4, v11, s15, v4
	v_mul_f64 v[11:12], v[13:14], s[12:13]
	v_and_b32_e32 v0, 0xffff, v0
	v_add_co_u32_e32 v9, vcc, s6, v9
	v_lshl_or_b32 v0, v4, 16, v0
	v_addc_co_u32_e32 v10, vcc, v10, v2, vcc
	global_store_dword v[9:10], v0, off
	v_and_or_b32 v0, v12, s10, v11
	v_cmp_ne_u32_e32 vcc, 0, v0
	v_cndmask_b32_e64 v0, 0, 1, vcc
	v_lshrrev_b32_e32 v4, 8, v12
	v_bfe_u32 v11, v12, 20, 11
	v_and_or_b32 v0, v4, s11, v0
	v_sub_u32_e32 v13, 0x3f1, v11
	v_or_b32_e32 v4, 0x1000, v0
	v_med3_i32 v13, v13, 0, 13
	v_lshrrev_b32_e32 v14, v13, v4
	v_lshlrev_b32_e32 v13, v13, v14
	v_mul_f16_sdwa v7, v37, v7 dst_sel:DWORD dst_unused:UNUSED_PAD src0_sel:WORD_1 src1_sel:DWORD
	v_cmp_ne_u32_e32 vcc, v13, v4
	v_fma_f16 v7, v37, v18, -v7
	v_cndmask_b32_e64 v4, 0, 1, vcc
	v_add_u32_e32 v11, 0xfffffc10, v11
	v_cvt_f32_f16_e32 v7, v7
	v_or_b32_e32 v4, v14, v4
	v_lshl_or_b32 v13, v11, 12, v0
	v_cmp_gt_i32_e32 vcc, 1, v11
	v_cndmask_b32_e32 v4, v13, v4, vcc
	v_and_b32_e32 v13, 7, v4
	v_cmp_lt_i32_e32 vcc, 5, v13
	v_cmp_eq_u32_e64 s[2:3], 3, v13
	v_cvt_f64_f32_e32 v[13:14], v7
	v_lshrrev_b32_e32 v4, 2, v4
	s_or_b64 vcc, s[2:3], vcc
	v_addc_co_u32_e32 v4, vcc, 0, v4, vcc
	v_mul_f64 v[13:14], v[13:14], s[12:13]
	v_cmp_gt_i32_e32 vcc, 31, v11
	v_cndmask_b32_e32 v4, v6, v4, vcc
	v_cmp_ne_u32_e32 vcc, 0, v0
	v_cndmask_b32_e64 v0, 0, 1, vcc
	v_lshl_or_b32 v0, v0, 9, v6
	v_cmp_eq_u32_e32 vcc, s14, v11
	v_cndmask_b32_e32 v0, v4, v0, vcc
	v_lshrrev_b32_e32 v4, 16, v12
	v_and_or_b32 v0, v4, s15, v0
	v_and_or_b32 v4, v14, s10, v13
	v_cmp_ne_u32_e32 vcc, 0, v4
	v_cndmask_b32_e64 v4, 0, 1, vcc
	v_lshrrev_b32_e32 v7, 8, v14
	v_bfe_u32 v11, v14, 20, 11
	v_and_or_b32 v4, v7, s11, v4
	v_sub_u32_e32 v12, 0x3f1, v11
	v_or_b32_e32 v7, 0x1000, v4
	v_med3_i32 v12, v12, 0, 13
	v_lshrrev_b32_e32 v13, v12, v7
	v_lshlrev_b32_e32 v12, v12, v13
	v_cmp_ne_u32_e32 vcc, v12, v7
	v_cndmask_b32_e64 v7, 0, 1, vcc
	v_or_b32_e32 v7, v13, v7
	v_add_u32_e32 v13, 0xfffffc10, v11
	v_lshl_or_b32 v11, v13, 12, v4
	v_cmp_gt_i32_e32 vcc, 1, v13
	v_cndmask_b32_e32 v7, v11, v7, vcc
	v_and_b32_e32 v11, 7, v7
	v_lshrrev_b32_e32 v15, 16, v1
	v_cmp_lt_i32_e32 vcc, 5, v11
	v_cmp_eq_u32_e64 s[2:3], 3, v11
	v_mul_f16_sdwa v11, v35, v15 dst_sel:DWORD dst_unused:UNUSED_PAD src0_sel:WORD_1 src1_sel:DWORD
	v_fma_f16 v11, v35, v1, v11
	v_cvt_f32_f16_e32 v11, v11
	v_lshrrev_b32_e32 v7, 2, v7
	s_or_b64 vcc, s[2:3], vcc
	v_addc_co_u32_e32 v7, vcc, 0, v7, vcc
	v_cvt_f64_f32_e32 v[11:12], v11
	v_cmp_gt_i32_e32 vcc, 31, v13
	v_cndmask_b32_e32 v7, v6, v7, vcc
	v_cmp_ne_u32_e32 vcc, 0, v4
	v_mul_f64 v[11:12], v[11:12], s[12:13]
	v_cndmask_b32_e64 v4, 0, 1, vcc
	v_lshl_or_b32 v4, v4, 9, v6
	v_cmp_eq_u32_e32 vcc, s14, v13
	v_cndmask_b32_e32 v4, v7, v4, vcc
	v_lshrrev_b32_e32 v7, 16, v14
	v_and_or_b32 v4, v7, s15, v4
	v_and_b32_e32 v0, 0xffff, v0
	v_add_co_u32_e32 v9, vcc, s6, v9
	v_lshl_or_b32 v0, v4, 16, v0
	v_addc_co_u32_e32 v10, vcc, v10, v2, vcc
	global_store_dword v[9:10], v0, off
	v_and_or_b32 v0, v12, s10, v11
	v_cmp_ne_u32_e32 vcc, 0, v0
	v_cndmask_b32_e64 v0, 0, 1, vcc
	v_lshrrev_b32_e32 v4, 8, v12
	v_bfe_u32 v7, v12, 20, 11
	v_and_or_b32 v4, v4, s11, v0
	v_sub_u32_e32 v11, 0x3f1, v7
	v_or_b32_e32 v0, 0x1000, v4
	v_med3_i32 v11, v11, 0, 13
	v_lshrrev_b32_e32 v13, v11, v0
	v_lshlrev_b32_e32 v11, v11, v13
	v_mul_f16_sdwa v1, v35, v1 dst_sel:DWORD dst_unused:UNUSED_PAD src0_sel:WORD_1 src1_sel:DWORD
	v_cmp_ne_u32_e32 vcc, v11, v0
	v_fma_f16 v1, v35, v15, -v1
	v_cndmask_b32_e64 v0, 0, 1, vcc
	v_add_u32_e32 v7, 0xfffffc10, v7
	v_cvt_f32_f16_e32 v1, v1
	v_or_b32_e32 v0, v13, v0
	v_lshl_or_b32 v11, v7, 12, v4
	v_cmp_gt_i32_e32 vcc, 1, v7
	v_cndmask_b32_e32 v0, v11, v0, vcc
	v_and_b32_e32 v11, 7, v0
	v_cmp_lt_i32_e32 vcc, 5, v11
	v_cmp_eq_u32_e64 s[2:3], 3, v11
	v_lshrrev_b32_e32 v11, 2, v0
	v_cvt_f64_f32_e32 v[0:1], v1
	s_or_b64 vcc, s[2:3], vcc
	v_addc_co_u32_e32 v11, vcc, 0, v11, vcc
	v_mul_f64 v[0:1], v[0:1], s[12:13]
	v_cmp_gt_i32_e32 vcc, 31, v7
	v_cndmask_b32_e32 v11, v6, v11, vcc
	v_cmp_ne_u32_e32 vcc, 0, v4
	v_cndmask_b32_e64 v4, 0, 1, vcc
	v_lshl_or_b32 v4, v4, 9, v6
	v_cmp_eq_u32_e32 vcc, s14, v7
	v_cndmask_b32_e32 v4, v11, v4, vcc
	v_and_or_b32 v0, v1, s10, v0
	v_lshrrev_b32_e32 v7, 16, v12
	v_cmp_ne_u32_e32 vcc, 0, v0
	v_and_or_b32 v4, v7, s15, v4
	v_cndmask_b32_e64 v0, 0, 1, vcc
	v_lshrrev_b32_e32 v7, 8, v1
	v_bfe_u32 v11, v1, 20, 11
	v_and_or_b32 v0, v7, s11, v0
	v_sub_u32_e32 v12, 0x3f1, v11
	v_or_b32_e32 v7, 0x1000, v0
	v_med3_i32 v12, v12, 0, 13
	v_lshrrev_b32_e32 v13, v12, v7
	v_lshlrev_b32_e32 v12, v12, v13
	v_cmp_ne_u32_e32 vcc, v12, v7
	v_cndmask_b32_e64 v7, 0, 1, vcc
	v_add_u32_e32 v11, 0xfffffc10, v11
	v_or_b32_e32 v7, v13, v7
	v_lshl_or_b32 v12, v11, 12, v0
	v_cmp_gt_i32_e32 vcc, 1, v11
	v_cndmask_b32_e32 v7, v12, v7, vcc
	v_and_b32_e32 v12, 7, v7
	v_cmp_lt_i32_e32 vcc, 5, v12
	v_cmp_eq_u32_e64 s[2:3], 3, v12
	v_lshrrev_b32_e32 v7, 2, v7
	s_or_b64 vcc, s[2:3], vcc
	v_addc_co_u32_e32 v7, vcc, 0, v7, vcc
	v_cmp_gt_i32_e32 vcc, 31, v11
	v_cndmask_b32_e32 v7, v6, v7, vcc
	v_cmp_ne_u32_e32 vcc, 0, v0
	v_cndmask_b32_e64 v0, 0, 1, vcc
	v_lshl_or_b32 v0, v0, 9, v6
	v_cmp_eq_u32_e32 vcc, s14, v11
	v_cndmask_b32_e32 v0, v7, v0, vcc
	v_lshrrev_b32_e32 v1, 16, v1
	v_lshrrev_b32_e32 v11, 16, v3
	v_and_or_b32 v7, v1, s15, v0
	v_mul_f16_sdwa v0, v34, v11 dst_sel:DWORD dst_unused:UNUSED_PAD src0_sel:WORD_1 src1_sel:DWORD
	v_fma_f16 v0, v34, v3, v0
	v_cvt_f32_f16_e32 v0, v0
	s_mul_hi_u32 s3, s8, 0xfffffec1
	s_mul_i32 s2, s9, 0xfffffec1
	s_sub_i32 s3, s3, s8
	v_cvt_f64_f32_e32 v[0:1], v0
	s_add_i32 s3, s3, s2
	s_mul_i32 s2, s8, 0xfffffec1
	v_and_b32_e32 v4, 0xffff, v4
	v_mul_f64 v[0:1], v[0:1], s[12:13]
	s_lshl_b64 s[4:5], s[2:3], 2
	v_lshl_or_b32 v4, v7, 16, v4
	v_mov_b32_e32 v7, s5
	v_add_co_u32_e32 v9, vcc, s4, v9
	v_addc_co_u32_e32 v10, vcc, v10, v7, vcc
	v_and_or_b32 v0, v1, s10, v0
	v_cmp_ne_u32_e32 vcc, 0, v0
	global_store_dword v[9:10], v4, off
	v_cndmask_b32_e64 v0, 0, 1, vcc
	v_lshrrev_b32_e32 v4, 8, v1
	v_bfe_u32 v7, v1, 20, 11
	v_and_or_b32 v0, v4, s11, v0
	v_sub_u32_e32 v12, 0x3f1, v7
	v_or_b32_e32 v4, 0x1000, v0
	v_med3_i32 v12, v12, 0, 13
	v_lshrrev_b32_e32 v13, v12, v4
	v_mul_f16_sdwa v3, v34, v3 dst_sel:DWORD dst_unused:UNUSED_PAD src0_sel:WORD_1 src1_sel:DWORD
	v_lshlrev_b32_e32 v12, v12, v13
	v_fma_f16 v3, v34, v11, -v3
	v_cmp_ne_u32_e32 vcc, v12, v4
	v_cvt_f32_f16_e32 v3, v3
	v_cndmask_b32_e64 v4, 0, 1, vcc
	v_add_u32_e32 v7, 0xfffffc10, v7
	v_or_b32_e32 v4, v13, v4
	v_lshl_or_b32 v12, v7, 12, v0
	v_cmp_gt_i32_e32 vcc, 1, v7
	v_cndmask_b32_e32 v4, v12, v4, vcc
	v_and_b32_e32 v12, 7, v4
	v_lshrrev_b32_e32 v11, 2, v4
	v_cvt_f64_f32_e32 v[3:4], v3
	v_cmp_lt_i32_e32 vcc, 5, v12
	v_cmp_eq_u32_e64 s[2:3], 3, v12
	s_or_b64 vcc, s[2:3], vcc
	v_mul_f64 v[3:4], v[3:4], s[12:13]
	v_addc_co_u32_e32 v11, vcc, 0, v11, vcc
	v_cmp_gt_i32_e32 vcc, 31, v7
	v_cndmask_b32_e32 v11, v6, v11, vcc
	v_cmp_ne_u32_e32 vcc, 0, v0
	v_cndmask_b32_e64 v0, 0, 1, vcc
	v_lshl_or_b32 v0, v0, 9, v6
	v_cmp_eq_u32_e32 vcc, s14, v7
	v_cndmask_b32_e32 v0, v11, v0, vcc
	v_lshrrev_b32_e32 v1, 16, v1
	v_and_or_b32 v7, v1, s15, v0
	v_and_or_b32 v0, v4, s10, v3
	v_cmp_ne_u32_e32 vcc, 0, v0
	v_cndmask_b32_e64 v0, 0, 1, vcc
	v_lshrrev_b32_e32 v1, 8, v4
	v_bfe_u32 v3, v4, 20, 11
	v_and_or_b32 v0, v1, s11, v0
	v_sub_u32_e32 v11, 0x3f1, v3
	v_or_b32_e32 v1, 0x1000, v0
	v_med3_i32 v11, v11, 0, 13
	v_lshrrev_b32_e32 v12, v11, v1
	v_lshlrev_b32_e32 v11, v11, v12
	v_cmp_ne_u32_e32 vcc, v11, v1
	v_cndmask_b32_e64 v1, 0, 1, vcc
	v_add_u32_e32 v3, 0xfffffc10, v3
	v_or_b32_e32 v1, v12, v1
	v_lshl_or_b32 v11, v3, 12, v0
	v_cmp_gt_i32_e32 vcc, 1, v3
	v_cndmask_b32_e32 v1, v11, v1, vcc
	v_and_b32_e32 v11, 7, v1
	v_cmp_lt_i32_e32 vcc, 5, v11
	v_cmp_eq_u32_e64 s[2:3], 3, v11
	v_lshrrev_b32_e32 v1, 2, v1
	s_or_b64 vcc, s[2:3], vcc
	v_addc_co_u32_e32 v1, vcc, 0, v1, vcc
	v_cmp_gt_i32_e32 vcc, 31, v3
	v_lshrrev_b32_e32 v12, 16, v5
	v_cndmask_b32_e32 v11, v6, v1, vcc
	v_mul_f16_sdwa v1, v33, v12 dst_sel:DWORD dst_unused:UNUSED_PAD src0_sel:WORD_1 src1_sel:DWORD
	v_fma_f16 v1, v33, v5, v1
	v_cvt_f32_f16_e32 v1, v1
	v_cmp_ne_u32_e32 vcc, 0, v0
	v_cndmask_b32_e64 v0, 0, 1, vcc
	v_lshl_or_b32 v13, v0, 9, v6
	v_cvt_f64_f32_e32 v[0:1], v1
	v_cmp_eq_u32_e32 vcc, s14, v3
	v_cndmask_b32_e32 v3, v11, v13, vcc
	v_lshrrev_b32_e32 v4, 16, v4
	v_mul_f64 v[0:1], v[0:1], s[12:13]
	v_and_or_b32 v3, v4, s15, v3
	v_and_b32_e32 v4, 0xffff, v7
	v_lshl_or_b32 v7, v3, 16, v4
	v_add_co_u32_e32 v3, vcc, s6, v9
	v_addc_co_u32_e32 v4, vcc, v10, v2, vcc
	v_and_or_b32 v0, v1, s10, v0
	v_cmp_ne_u32_e32 vcc, 0, v0
	global_store_dword v[3:4], v7, off
	v_cndmask_b32_e64 v0, 0, 1, vcc
	v_lshrrev_b32_e32 v7, 8, v1
	v_bfe_u32 v9, v1, 20, 11
	v_and_or_b32 v0, v7, s11, v0
	v_sub_u32_e32 v10, 0x3f1, v9
	v_or_b32_e32 v7, 0x1000, v0
	v_med3_i32 v10, v10, 0, 13
	v_lshrrev_b32_e32 v11, v10, v7
	v_lshlrev_b32_e32 v10, v10, v11
	v_cmp_ne_u32_e32 vcc, v10, v7
	v_mul_f16_sdwa v5, v33, v5 dst_sel:DWORD dst_unused:UNUSED_PAD src0_sel:WORD_1 src1_sel:DWORD
	v_cndmask_b32_e64 v7, 0, 1, vcc
	v_fma_f16 v5, v33, v12, -v5
	v_or_b32_e32 v7, v11, v7
	v_add_u32_e32 v11, 0xfffffc10, v9
	v_cvt_f32_f16_e32 v5, v5
	v_lshl_or_b32 v9, v11, 12, v0
	v_cmp_gt_i32_e32 vcc, 1, v11
	v_cndmask_b32_e32 v7, v9, v7, vcc
	v_and_b32_e32 v9, 7, v7
	v_cmp_lt_i32_e32 vcc, 5, v9
	v_cmp_eq_u32_e64 s[2:3], 3, v9
	v_cvt_f64_f32_e32 v[9:10], v5
	v_lshrrev_b32_e32 v7, 2, v7
	s_or_b64 vcc, s[2:3], vcc
	v_addc_co_u32_e32 v5, vcc, 0, v7, vcc
	v_mul_f64 v[9:10], v[9:10], s[12:13]
	v_cmp_gt_i32_e32 vcc, 31, v11
	v_cndmask_b32_e32 v5, v6, v5, vcc
	v_cmp_ne_u32_e32 vcc, 0, v0
	v_cndmask_b32_e64 v0, 0, 1, vcc
	v_lshl_or_b32 v0, v0, 9, v6
	v_cmp_eq_u32_e32 vcc, s14, v11
	v_cndmask_b32_e32 v0, v5, v0, vcc
	v_lshrrev_b32_e32 v1, 16, v1
	v_and_or_b32 v5, v1, s15, v0
	v_and_or_b32 v0, v10, s10, v9
	v_cmp_ne_u32_e32 vcc, 0, v0
	v_cndmask_b32_e64 v0, 0, 1, vcc
	v_lshrrev_b32_e32 v1, 8, v10
	v_bfe_u32 v7, v10, 20, 11
	v_and_or_b32 v0, v1, s11, v0
	v_sub_u32_e32 v9, 0x3f1, v7
	v_or_b32_e32 v1, 0x1000, v0
	v_med3_i32 v9, v9, 0, 13
	v_lshrrev_b32_e32 v11, v9, v1
	v_lshlrev_b32_e32 v9, v9, v11
	v_cmp_ne_u32_e32 vcc, v9, v1
	v_cndmask_b32_e64 v1, 0, 1, vcc
	v_add_u32_e32 v7, 0xfffffc10, v7
	v_or_b32_e32 v1, v11, v1
	v_lshl_or_b32 v9, v7, 12, v0
	v_cmp_gt_i32_e32 vcc, 1, v7
	v_cndmask_b32_e32 v1, v9, v1, vcc
	v_and_b32_e32 v9, 7, v1
	v_cmp_lt_i32_e32 vcc, 5, v9
	v_cmp_eq_u32_e64 s[2:3], 3, v9
	v_lshrrev_b32_e32 v1, 2, v1
	s_or_b64 vcc, s[2:3], vcc
	v_addc_co_u32_e32 v1, vcc, 0, v1, vcc
	v_cmp_gt_i32_e32 vcc, 31, v7
	v_lshrrev_b32_e32 v11, 16, v8
	v_cndmask_b32_e32 v9, v6, v1, vcc
	v_mul_f16_sdwa v1, v32, v11 dst_sel:DWORD dst_unused:UNUSED_PAD src0_sel:WORD_1 src1_sel:DWORD
	v_fma_f16 v1, v32, v8, v1
	v_cvt_f32_f16_e32 v1, v1
	v_cmp_ne_u32_e32 vcc, 0, v0
	v_cndmask_b32_e64 v0, 0, 1, vcc
	v_lshl_or_b32 v12, v0, 9, v6
	v_cvt_f64_f32_e32 v[0:1], v1
	v_cmp_eq_u32_e32 vcc, s14, v7
	v_cndmask_b32_e32 v7, v9, v12, vcc
	v_lshrrev_b32_e32 v9, 16, v10
	v_mul_f64 v[0:1], v[0:1], s[12:13]
	v_add_co_u32_e32 v3, vcc, s6, v3
	v_and_or_b32 v7, v9, s15, v7
	v_and_b32_e32 v5, 0xffff, v5
	v_addc_co_u32_e32 v4, vcc, v4, v2, vcc
	v_lshl_or_b32 v5, v7, 16, v5
	v_and_or_b32 v0, v1, s10, v0
	v_cmp_ne_u32_e32 vcc, 0, v0
	global_store_dword v[3:4], v5, off
	v_cndmask_b32_e64 v0, 0, 1, vcc
	v_lshrrev_b32_e32 v5, 8, v1
	v_bfe_u32 v7, v1, 20, 11
	v_and_or_b32 v0, v5, s11, v0
	v_sub_u32_e32 v9, 0x3f1, v7
	v_or_b32_e32 v5, 0x1000, v0
	v_med3_i32 v9, v9, 0, 13
	v_lshrrev_b32_e32 v10, v9, v5
	v_lshlrev_b32_e32 v9, v9, v10
	v_mul_f16_sdwa v8, v32, v8 dst_sel:DWORD dst_unused:UNUSED_PAD src0_sel:WORD_1 src1_sel:DWORD
	v_cmp_ne_u32_e32 vcc, v9, v5
	v_fma_f16 v8, v32, v11, -v8
	v_cndmask_b32_e64 v5, 0, 1, vcc
	v_add_u32_e32 v9, 0xfffffc10, v7
	v_cvt_f32_f16_e32 v8, v8
	v_or_b32_e32 v5, v10, v5
	v_lshl_or_b32 v7, v9, 12, v0
	v_cmp_gt_i32_e32 vcc, 1, v9
	v_cndmask_b32_e32 v5, v7, v5, vcc
	v_and_b32_e32 v7, 7, v5
	v_cmp_lt_i32_e32 vcc, 5, v7
	v_cmp_eq_u32_e64 s[2:3], 3, v7
	v_cvt_f64_f32_e32 v[7:8], v8
	v_lshrrev_b32_e32 v5, 2, v5
	s_or_b64 vcc, s[2:3], vcc
	v_addc_co_u32_e32 v5, vcc, 0, v5, vcc
	v_mul_f64 v[7:8], v[7:8], s[12:13]
	v_cmp_gt_i32_e32 vcc, 31, v9
	v_cndmask_b32_e32 v5, v6, v5, vcc
	v_cmp_ne_u32_e32 vcc, 0, v0
	v_cndmask_b32_e64 v0, 0, 1, vcc
	v_lshl_or_b32 v0, v0, 9, v6
	v_cmp_eq_u32_e32 vcc, s14, v9
	v_cndmask_b32_e32 v0, v5, v0, vcc
	v_lshrrev_b32_e32 v1, 16, v1
	v_and_or_b32 v0, v1, s15, v0
	v_and_or_b32 v1, v8, s10, v7
	v_cmp_ne_u32_e32 vcc, 0, v1
	v_cndmask_b32_e64 v1, 0, 1, vcc
	v_lshrrev_b32_e32 v5, 8, v8
	v_bfe_u32 v7, v8, 20, 11
	v_and_or_b32 v1, v5, s11, v1
	v_sub_u32_e32 v9, 0x3f1, v7
	v_or_b32_e32 v5, 0x1000, v1
	v_med3_i32 v9, v9, 0, 13
	v_lshrrev_b32_e32 v10, v9, v5
	v_lshlrev_b32_e32 v9, v9, v10
	v_cmp_ne_u32_e32 vcc, v9, v5
	v_cndmask_b32_e64 v5, 0, 1, vcc
	v_add_u32_e32 v7, 0xfffffc10, v7
	v_or_b32_e32 v5, v10, v5
	v_lshl_or_b32 v9, v7, 12, v1
	v_cmp_gt_i32_e32 vcc, 1, v7
	v_cndmask_b32_e32 v5, v9, v5, vcc
	v_and_b32_e32 v9, 7, v5
	v_cmp_lt_i32_e32 vcc, 5, v9
	v_cmp_eq_u32_e64 s[2:3], 3, v9
	v_lshrrev_b32_e32 v5, 2, v5
	s_or_b64 vcc, s[2:3], vcc
	v_addc_co_u32_e32 v5, vcc, 0, v5, vcc
	v_cmp_gt_i32_e32 vcc, 31, v7
	v_cndmask_b32_e32 v5, v6, v5, vcc
	v_cmp_ne_u32_e32 vcc, 0, v1
	v_cndmask_b32_e64 v1, 0, 1, vcc
	v_lshl_or_b32 v1, v1, 9, v6
	v_cmp_eq_u32_e32 vcc, s14, v7
	v_cndmask_b32_e32 v1, v5, v1, vcc
	v_lshrrev_b32_e32 v5, 16, v8
	v_and_or_b32 v1, v5, s15, v1
	v_and_b32_e32 v0, 0xffff, v0
	v_lshl_or_b32 v5, v1, 16, v0
	v_add_co_u32_e32 v0, vcc, s6, v3
	v_addc_co_u32_e32 v1, vcc, v4, v2, vcc
	global_store_dword v[0:1], v5, off
	s_and_b64 exec, exec, s[0:1]
	s_cbranch_execz .LBB0_15
; %bb.14:
	global_load_dword v4, v[16:17], off offset:352
	global_load_dword v11, v[16:17], off offset:836
	ds_read2_b32 v[2:3], v31 offset0:88 offset1:209
	global_load_dword v12, v[16:17], off offset:1320
	global_load_dword v13, v[16:17], off offset:1804
	v_mov_b32_e32 v15, s5
	v_add_co_u32_e32 v0, vcc, s4, v0
	s_waitcnt lgkmcnt(0)
	v_lshrrev_b32_e32 v5, 16, v2
	v_lshrrev_b32_e32 v14, 16, v3
	v_addc_co_u32_e32 v1, vcc, v1, v15, vcc
	s_waitcnt vmcnt(3)
	v_mul_f16_sdwa v7, v5, v4 dst_sel:DWORD dst_unused:UNUSED_PAD src0_sel:DWORD src1_sel:WORD_1
	v_mul_f16_sdwa v8, v2, v4 dst_sel:DWORD dst_unused:UNUSED_PAD src0_sel:DWORD src1_sel:WORD_1
	v_fma_f16 v2, v2, v4, v7
	v_cvt_f32_f16_e32 v2, v2
	s_waitcnt vmcnt(2)
	v_mul_f16_sdwa v9, v14, v11 dst_sel:DWORD dst_unused:UNUSED_PAD src0_sel:DWORD src1_sel:WORD_1
	v_fma_f16 v4, v4, v5, -v8
	v_cvt_f32_f16_e32 v7, v4
	v_fma_f16 v8, v3, v11, v9
	v_cvt_f64_f32_e32 v[4:5], v2
	v_cvt_f32_f16_e32 v2, v8
	v_cvt_f64_f32_e32 v[7:8], v7
	v_mul_f16_sdwa v3, v3, v11 dst_sel:DWORD dst_unused:UNUSED_PAD src0_sel:DWORD src1_sel:WORD_1
	v_mul_f64 v[4:5], v[4:5], s[12:13]
	v_cvt_f64_f32_e32 v[9:10], v2
	v_mul_f64 v[7:8], v[7:8], s[12:13]
	v_fma_f16 v3, v11, v14, -v3
	v_cvt_f32_f16_e32 v3, v3
	v_mul_f64 v[9:10], v[9:10], s[12:13]
	v_and_or_b32 v2, v5, s10, v4
	v_cmp_ne_u32_e32 vcc, 0, v2
	v_and_or_b32 v7, v8, s10, v7
	v_lshrrev_b32_e32 v4, 8, v5
	v_bfe_u32 v15, v5, 20, 11
	v_and_or_b32 v9, v10, s10, v9
	v_cndmask_b32_e64 v2, 0, 1, vcc
	v_cmp_ne_u32_e32 vcc, 0, v7
	v_lshrrev_b32_e32 v16, 8, v8
	v_bfe_u32 v17, v8, 20, 11
	v_bfe_u32 v19, v10, 20, 11
	v_sub_u32_e32 v20, 0x3f1, v15
	v_cndmask_b32_e64 v7, 0, 1, vcc
	v_cmp_ne_u32_e32 vcc, 0, v9
	v_and_or_b32 v2, v4, s11, v2
	v_lshrrev_b32_e32 v18, 8, v10
	v_sub_u32_e32 v21, 0x3f1, v17
	v_cndmask_b32_e64 v9, 0, 1, vcc
	v_sub_u32_e32 v22, 0x3f1, v19
	v_med3_i32 v4, v20, 0, 13
	v_and_or_b32 v7, v16, s11, v7
	v_or_b32_e32 v20, 0x1000, v2
	v_add_u32_e32 v15, 0xfffffc10, v15
	v_med3_i32 v16, v21, 0, 13
	v_and_or_b32 v9, v18, s11, v9
	v_med3_i32 v18, v22, 0, 13
	v_cmp_ne_u32_e32 vcc, 0, v2
	v_or_b32_e32 v22, 0x1000, v7
	v_lshrrev_b32_e32 v27, v4, v20
	v_add_u32_e32 v17, 0xfffffc10, v17
	v_lshl_or_b32 v21, v15, 12, v2
	v_cndmask_b32_e64 v2, 0, 1, vcc
	v_cmp_ne_u32_e32 vcc, 0, v7
	v_or_b32_e32 v25, 0x1000, v9
	v_lshrrev_b32_e32 v28, v16, v22
	v_lshlrev_b32_e32 v4, v4, v27
	v_lshl_or_b32 v24, v17, 12, v7
	v_cndmask_b32_e64 v7, 0, 1, vcc
	v_lshrrev_b32_e32 v29, v18, v25
	v_lshlrev_b32_e32 v16, v16, v28
	v_cmp_ne_u32_e32 vcc, v4, v20
	v_lshlrev_b32_e32 v18, v18, v29
	v_cndmask_b32_e64 v4, 0, 1, vcc
	v_cmp_ne_u32_e32 vcc, v16, v22
	v_cndmask_b32_e64 v16, 0, 1, vcc
	v_cmp_ne_u32_e32 vcc, v18, v25
	v_cndmask_b32_e64 v18, 0, 1, vcc
	v_or_b32_e32 v4, v27, v4
	v_cmp_gt_i32_e32 vcc, 1, v15
	v_add_u32_e32 v19, 0xfffffc10, v19
	v_or_b32_e32 v16, v28, v16
	v_cndmask_b32_e32 v4, v21, v4, vcc
	v_cmp_gt_i32_e32 vcc, 1, v17
	v_lshl_or_b32 v26, v19, 12, v9
	v_or_b32_e32 v18, v29, v18
	v_cndmask_b32_e32 v16, v24, v16, vcc
	v_cmp_gt_i32_e32 vcc, 1, v19
	v_and_b32_e32 v20, 7, v4
	v_cndmask_b32_e32 v18, v26, v18, vcc
	v_cmp_lt_i32_e32 vcc, 5, v20
	v_cmp_eq_u32_e64 s[0:1], 3, v20
	v_lshrrev_b32_e32 v4, 2, v4
	v_and_b32_e32 v21, 7, v16
	s_or_b64 vcc, s[0:1], vcc
	v_cmp_lt_i32_e64 s[2:3], 5, v21
	v_cmp_eq_u32_e64 s[4:5], 3, v21
	v_addc_co_u32_e32 v4, vcc, 0, v4, vcc
	v_lshrrev_b32_e32 v16, 2, v16
	s_or_b64 vcc, s[4:5], s[2:3]
	v_addc_co_u32_e32 v16, vcc, 0, v16, vcc
	v_cmp_gt_i32_e32 vcc, 31, v15
	v_cndmask_b32_e32 v4, v6, v4, vcc
	v_cmp_gt_i32_e32 vcc, 31, v17
	v_lshl_or_b32 v2, v2, 9, v6
	v_cndmask_b32_e32 v16, v6, v16, vcc
	v_cmp_eq_u32_e32 vcc, s14, v15
	v_lshrrev_b32_e32 v5, 16, v5
	v_lshl_or_b32 v7, v7, 9, v6
	v_cndmask_b32_e32 v2, v4, v2, vcc
	v_cmp_eq_u32_e32 vcc, s14, v17
	v_lshrrev_b32_e32 v8, 16, v8
	v_cndmask_b32_e32 v4, v16, v7, vcc
	v_and_or_b32 v2, v5, s15, v2
	v_and_or_b32 v4, v8, s15, v4
	v_and_b32_e32 v2, 0xffff, v2
	v_lshl_or_b32 v2, v4, 16, v2
	global_store_dword v[0:1], v2, off
	v_and_b32_e32 v2, 7, v18
	v_cmp_lt_i32_e32 vcc, 5, v2
	v_cmp_eq_u32_e64 s[0:1], 3, v2
	v_cvt_f64_f32_e32 v[2:3], v3
	v_lshrrev_b32_e32 v4, 2, v18
	s_or_b64 vcc, s[0:1], vcc
	v_addc_co_u32_e32 v4, vcc, 0, v4, vcc
	v_mul_f64 v[2:3], v[2:3], s[12:13]
	v_cmp_gt_i32_e32 vcc, 31, v19
	v_cndmask_b32_e32 v4, v6, v4, vcc
	v_cmp_ne_u32_e32 vcc, 0, v9
	v_cndmask_b32_e64 v5, 0, 1, vcc
	v_lshl_or_b32 v5, v5, 9, v6
	v_cmp_eq_u32_e32 vcc, s14, v19
	v_cndmask_b32_e32 v4, v4, v5, vcc
	v_and_or_b32 v2, v3, s10, v2
	v_lshrrev_b32_e32 v5, 16, v10
	v_cmp_ne_u32_e32 vcc, 0, v2
	v_and_or_b32 v9, v5, s15, v4
	v_cndmask_b32_e64 v2, 0, 1, vcc
	v_lshrrev_b32_e32 v4, 8, v3
	v_bfe_u32 v5, v3, 20, 11
	v_and_or_b32 v2, v4, s11, v2
	v_sub_u32_e32 v7, 0x3f1, v5
	v_or_b32_e32 v4, 0x1000, v2
	v_med3_i32 v7, v7, 0, 13
	v_lshrrev_b32_e32 v8, v7, v4
	v_lshlrev_b32_e32 v7, v7, v8
	v_cmp_ne_u32_e32 vcc, v7, v4
	v_cndmask_b32_e64 v4, 0, 1, vcc
	v_add_u32_e32 v7, 0xfffffc10, v5
	v_or_b32_e32 v4, v8, v4
	v_lshl_or_b32 v5, v7, 12, v2
	v_cmp_gt_i32_e32 vcc, 1, v7
	v_cndmask_b32_e32 v4, v5, v4, vcc
	v_and_b32_e32 v5, 7, v4
	v_cmp_lt_i32_e32 vcc, 5, v5
	v_cmp_eq_u32_e64 s[0:1], 3, v5
	v_lshrrev_b32_e32 v4, 2, v4
	s_or_b64 vcc, s[0:1], vcc
	v_addc_co_u32_e32 v8, vcc, 0, v4, vcc
	ds_read2_b32 v[4:5], v23 offset0:74 offset1:195
	v_cmp_gt_i32_e32 vcc, 31, v7
	v_cndmask_b32_e32 v8, v6, v8, vcc
	v_cmp_ne_u32_e32 vcc, 0, v2
	v_cndmask_b32_e64 v2, 0, 1, vcc
	s_waitcnt lgkmcnt(0)
	v_lshrrev_b32_e32 v10, 16, v4
	s_waitcnt vmcnt(2)
	v_mul_f16_sdwa v11, v10, v12 dst_sel:DWORD dst_unused:UNUSED_PAD src0_sel:DWORD src1_sel:WORD_1
	v_fma_f16 v11, v4, v12, v11
	v_cvt_f32_f16_e32 v11, v11
	v_lshl_or_b32 v2, v2, 9, v6
	v_cmp_eq_u32_e32 vcc, s14, v7
	v_cndmask_b32_e32 v2, v8, v2, vcc
	v_cvt_f64_f32_e32 v[7:8], v11
	v_lshrrev_b32_e32 v3, 16, v3
	v_and_or_b32 v11, v3, s15, v2
	v_and_b32_e32 v9, 0xffff, v9
	v_mul_f64 v[2:3], v[7:8], s[12:13]
	v_lshl_or_b32 v7, v11, 16, v9
	v_mov_b32_e32 v9, s7
	v_add_co_u32_e32 v0, vcc, s6, v0
	v_addc_co_u32_e32 v1, vcc, v1, v9, vcc
	global_store_dword v[0:1], v7, off
	v_and_or_b32 v2, v3, s10, v2
	v_cmp_ne_u32_e32 vcc, 0, v2
	v_cndmask_b32_e64 v2, 0, 1, vcc
	v_lshrrev_b32_e32 v7, 8, v3
	v_bfe_u32 v8, v3, 20, 11
	v_and_or_b32 v2, v7, s11, v2
	v_sub_u32_e32 v11, 0x3f1, v8
	v_or_b32_e32 v7, 0x1000, v2
	v_med3_i32 v11, v11, 0, 13
	v_lshrrev_b32_e32 v14, v11, v7
	v_lshlrev_b32_e32 v11, v11, v14
	v_mul_f16_sdwa v4, v4, v12 dst_sel:DWORD dst_unused:UNUSED_PAD src0_sel:DWORD src1_sel:WORD_1
	v_cmp_ne_u32_e32 vcc, v11, v7
	v_fma_f16 v4, v12, v10, -v4
	v_cndmask_b32_e64 v7, 0, 1, vcc
	v_add_u32_e32 v11, 0xfffffc10, v8
	v_cvt_f32_f16_e32 v4, v4
	v_or_b32_e32 v7, v14, v7
	v_lshl_or_b32 v8, v11, 12, v2
	v_cmp_gt_i32_e32 vcc, 1, v11
	v_cndmask_b32_e32 v7, v8, v7, vcc
	v_and_b32_e32 v8, 7, v7
	v_cmp_lt_i32_e32 vcc, 5, v8
	v_cmp_eq_u32_e64 s[0:1], 3, v8
	v_lshrrev_b32_e32 v10, 2, v7
	v_cvt_f64_f32_e32 v[7:8], v4
	s_or_b64 vcc, s[0:1], vcc
	v_addc_co_u32_e32 v4, vcc, 0, v10, vcc
	v_mul_f64 v[7:8], v[7:8], s[12:13]
	v_cmp_gt_i32_e32 vcc, 31, v11
	v_cndmask_b32_e32 v4, v6, v4, vcc
	v_cmp_ne_u32_e32 vcc, 0, v2
	v_cndmask_b32_e64 v2, 0, 1, vcc
	v_lshl_or_b32 v2, v2, 9, v6
	v_cmp_eq_u32_e32 vcc, s14, v11
	v_cndmask_b32_e32 v2, v4, v2, vcc
	v_lshrrev_b32_e32 v3, 16, v3
	v_and_or_b32 v4, v3, s15, v2
	v_and_or_b32 v2, v8, s10, v7
	v_cmp_ne_u32_e32 vcc, 0, v2
	v_cndmask_b32_e64 v2, 0, 1, vcc
	v_lshrrev_b32_e32 v3, 8, v8
	v_bfe_u32 v7, v8, 20, 11
	v_and_or_b32 v2, v3, s11, v2
	v_sub_u32_e32 v10, 0x3f1, v7
	v_or_b32_e32 v3, 0x1000, v2
	v_med3_i32 v10, v10, 0, 13
	v_lshrrev_b32_e32 v11, v10, v3
	v_lshlrev_b32_e32 v10, v10, v11
	v_cmp_ne_u32_e32 vcc, v10, v3
	v_cndmask_b32_e64 v3, 0, 1, vcc
	v_add_u32_e32 v7, 0xfffffc10, v7
	v_or_b32_e32 v3, v11, v3
	v_lshl_or_b32 v10, v7, 12, v2
	v_cmp_gt_i32_e32 vcc, 1, v7
	v_cndmask_b32_e32 v3, v10, v3, vcc
	v_and_b32_e32 v10, 7, v3
	v_cmp_lt_i32_e32 vcc, 5, v10
	v_cmp_eq_u32_e64 s[0:1], 3, v10
	v_lshrrev_b32_e32 v3, 2, v3
	s_or_b64 vcc, s[0:1], vcc
	v_addc_co_u32_e32 v3, vcc, 0, v3, vcc
	v_cmp_gt_i32_e32 vcc, 31, v7
	v_lshrrev_b32_e32 v11, 16, v5
	v_cndmask_b32_e32 v10, v6, v3, vcc
	s_waitcnt vmcnt(2)
	v_mul_f16_sdwa v3, v11, v13 dst_sel:DWORD dst_unused:UNUSED_PAD src0_sel:DWORD src1_sel:WORD_1
	v_fma_f16 v3, v5, v13, v3
	v_cvt_f32_f16_e32 v3, v3
	v_cmp_ne_u32_e32 vcc, 0, v2
	v_cndmask_b32_e64 v2, 0, 1, vcc
	v_lshl_or_b32 v12, v2, 9, v6
	v_cvt_f64_f32_e32 v[2:3], v3
	v_cmp_eq_u32_e32 vcc, s14, v7
	v_cndmask_b32_e32 v7, v10, v12, vcc
	v_lshrrev_b32_e32 v8, 16, v8
	v_mul_f64 v[2:3], v[2:3], s[12:13]
	v_add_co_u32_e32 v0, vcc, s6, v0
	v_and_or_b32 v7, v8, s15, v7
	v_and_b32_e32 v4, 0xffff, v4
	v_addc_co_u32_e32 v1, vcc, v1, v9, vcc
	v_lshl_or_b32 v4, v7, 16, v4
	v_and_or_b32 v2, v3, s10, v2
	v_cmp_ne_u32_e32 vcc, 0, v2
	global_store_dword v[0:1], v4, off
	v_cndmask_b32_e64 v2, 0, 1, vcc
	v_lshrrev_b32_e32 v4, 8, v3
	v_bfe_u32 v7, v3, 20, 11
	v_and_or_b32 v2, v4, s11, v2
	v_sub_u32_e32 v8, 0x3f1, v7
	v_or_b32_e32 v4, 0x1000, v2
	v_med3_i32 v8, v8, 0, 13
	v_lshrrev_b32_e32 v10, v8, v4
	v_lshlrev_b32_e32 v8, v8, v10
	v_mul_f16_sdwa v5, v5, v13 dst_sel:DWORD dst_unused:UNUSED_PAD src0_sel:DWORD src1_sel:WORD_1
	v_cmp_ne_u32_e32 vcc, v8, v4
	v_fma_f16 v5, v13, v11, -v5
	v_cndmask_b32_e64 v4, 0, 1, vcc
	v_add_u32_e32 v7, 0xfffffc10, v7
	v_cvt_f32_f16_e32 v5, v5
	v_or_b32_e32 v4, v10, v4
	v_lshl_or_b32 v8, v7, 12, v2
	v_cmp_gt_i32_e32 vcc, 1, v7
	v_cndmask_b32_e32 v4, v8, v4, vcc
	v_and_b32_e32 v8, 7, v4
	v_cmp_lt_i32_e32 vcc, 5, v8
	v_cmp_eq_u32_e64 s[0:1], 3, v8
	v_lshrrev_b32_e32 v8, 2, v4
	v_cvt_f64_f32_e32 v[4:5], v5
	s_or_b64 vcc, s[0:1], vcc
	v_addc_co_u32_e32 v8, vcc, 0, v8, vcc
	v_mul_f64 v[4:5], v[4:5], s[12:13]
	v_cmp_gt_i32_e32 vcc, 31, v7
	v_cndmask_b32_e32 v8, v6, v8, vcc
	v_cmp_ne_u32_e32 vcc, 0, v2
	v_cndmask_b32_e64 v2, 0, 1, vcc
	v_lshl_or_b32 v2, v2, 9, v6
	v_cmp_eq_u32_e32 vcc, s14, v7
	v_cndmask_b32_e32 v2, v8, v2, vcc
	v_lshrrev_b32_e32 v3, 16, v3
	v_and_or_b32 v2, v3, s15, v2
	v_and_or_b32 v3, v5, s10, v4
	v_cmp_ne_u32_e32 vcc, 0, v3
	v_cndmask_b32_e64 v3, 0, 1, vcc
	v_lshrrev_b32_e32 v4, 8, v5
	v_bfe_u32 v7, v5, 20, 11
	v_and_or_b32 v3, v4, s11, v3
	v_sub_u32_e32 v8, 0x3f1, v7
	v_or_b32_e32 v4, 0x1000, v3
	v_med3_i32 v8, v8, 0, 13
	v_lshrrev_b32_e32 v10, v8, v4
	v_lshlrev_b32_e32 v8, v8, v10
	v_cmp_ne_u32_e32 vcc, v8, v4
	v_cndmask_b32_e64 v4, 0, 1, vcc
	v_add_u32_e32 v7, 0xfffffc10, v7
	v_or_b32_e32 v4, v10, v4
	v_lshl_or_b32 v8, v7, 12, v3
	v_cmp_gt_i32_e32 vcc, 1, v7
	v_cndmask_b32_e32 v4, v8, v4, vcc
	v_and_b32_e32 v8, 7, v4
	v_cmp_lt_i32_e32 vcc, 5, v8
	v_cmp_eq_u32_e64 s[0:1], 3, v8
	v_lshrrev_b32_e32 v4, 2, v4
	s_or_b64 vcc, s[0:1], vcc
	v_addc_co_u32_e32 v4, vcc, 0, v4, vcc
	v_cmp_gt_i32_e32 vcc, 31, v7
	v_cndmask_b32_e32 v4, v6, v4, vcc
	v_cmp_ne_u32_e32 vcc, 0, v3
	v_cndmask_b32_e64 v3, 0, 1, vcc
	v_lshl_or_b32 v3, v3, 9, v6
	v_cmp_eq_u32_e32 vcc, s14, v7
	v_cndmask_b32_e32 v3, v4, v3, vcc
	v_lshrrev_b32_e32 v4, 16, v5
	v_and_or_b32 v3, v4, s15, v3
	v_and_b32_e32 v2, 0xffff, v2
	v_add_co_u32_e32 v0, vcc, s6, v0
	v_lshl_or_b32 v2, v3, 16, v2
	v_addc_co_u32_e32 v1, vcc, v1, v9, vcc
	global_store_dword v[0:1], v2, off
.LBB0_15:
	s_endpgm
	.section	.rodata,"a",@progbits
	.p2align	6, 0x0
	.amdhsa_kernel bluestein_single_fwd_len484_dim1_half_op_CI_CI
		.amdhsa_group_segment_fixed_size 1936
		.amdhsa_private_segment_fixed_size 0
		.amdhsa_kernarg_size 104
		.amdhsa_user_sgpr_count 6
		.amdhsa_user_sgpr_private_segment_buffer 1
		.amdhsa_user_sgpr_dispatch_ptr 0
		.amdhsa_user_sgpr_queue_ptr 0
		.amdhsa_user_sgpr_kernarg_segment_ptr 1
		.amdhsa_user_sgpr_dispatch_id 0
		.amdhsa_user_sgpr_flat_scratch_init 0
		.amdhsa_user_sgpr_private_segment_size 0
		.amdhsa_uses_dynamic_stack 0
		.amdhsa_system_sgpr_private_segment_wavefront_offset 0
		.amdhsa_system_sgpr_workgroup_id_x 1
		.amdhsa_system_sgpr_workgroup_id_y 0
		.amdhsa_system_sgpr_workgroup_id_z 0
		.amdhsa_system_sgpr_workgroup_info 0
		.amdhsa_system_vgpr_workitem_id 0
		.amdhsa_next_free_vgpr 79
		.amdhsa_next_free_sgpr 23
		.amdhsa_reserve_vcc 1
		.amdhsa_reserve_flat_scratch 0
		.amdhsa_float_round_mode_32 0
		.amdhsa_float_round_mode_16_64 0
		.amdhsa_float_denorm_mode_32 3
		.amdhsa_float_denorm_mode_16_64 3
		.amdhsa_dx10_clamp 1
		.amdhsa_ieee_mode 1
		.amdhsa_fp16_overflow 0
		.amdhsa_exception_fp_ieee_invalid_op 0
		.amdhsa_exception_fp_denorm_src 0
		.amdhsa_exception_fp_ieee_div_zero 0
		.amdhsa_exception_fp_ieee_overflow 0
		.amdhsa_exception_fp_ieee_underflow 0
		.amdhsa_exception_fp_ieee_inexact 0
		.amdhsa_exception_int_div_zero 0
	.end_amdhsa_kernel
	.text
.Lfunc_end0:
	.size	bluestein_single_fwd_len484_dim1_half_op_CI_CI, .Lfunc_end0-bluestein_single_fwd_len484_dim1_half_op_CI_CI
                                        ; -- End function
	.section	.AMDGPU.csdata,"",@progbits
; Kernel info:
; codeLenInByte = 18920
; NumSgprs: 27
; NumVgprs: 79
; ScratchSize: 0
; MemoryBound: 0
; FloatMode: 240
; IeeeMode: 1
; LDSByteSize: 1936 bytes/workgroup (compile time only)
; SGPRBlocks: 3
; VGPRBlocks: 19
; NumSGPRsForWavesPerEU: 27
; NumVGPRsForWavesPerEU: 79
; Occupancy: 3
; WaveLimiterHint : 1
; COMPUTE_PGM_RSRC2:SCRATCH_EN: 0
; COMPUTE_PGM_RSRC2:USER_SGPR: 6
; COMPUTE_PGM_RSRC2:TRAP_HANDLER: 0
; COMPUTE_PGM_RSRC2:TGID_X_EN: 1
; COMPUTE_PGM_RSRC2:TGID_Y_EN: 0
; COMPUTE_PGM_RSRC2:TGID_Z_EN: 0
; COMPUTE_PGM_RSRC2:TIDIG_COMP_CNT: 0
	.type	__hip_cuid_2db054f8e0e60eaa,@object ; @__hip_cuid_2db054f8e0e60eaa
	.section	.bss,"aw",@nobits
	.globl	__hip_cuid_2db054f8e0e60eaa
__hip_cuid_2db054f8e0e60eaa:
	.byte	0                               ; 0x0
	.size	__hip_cuid_2db054f8e0e60eaa, 1

	.ident	"AMD clang version 19.0.0git (https://github.com/RadeonOpenCompute/llvm-project roc-6.4.0 25133 c7fe45cf4b819c5991fe208aaa96edf142730f1d)"
	.section	".note.GNU-stack","",@progbits
	.addrsig
	.addrsig_sym __hip_cuid_2db054f8e0e60eaa
	.amdgpu_metadata
---
amdhsa.kernels:
  - .args:
      - .actual_access:  read_only
        .address_space:  global
        .offset:         0
        .size:           8
        .value_kind:     global_buffer
      - .actual_access:  read_only
        .address_space:  global
        .offset:         8
        .size:           8
        .value_kind:     global_buffer
      - .actual_access:  read_only
        .address_space:  global
        .offset:         16
        .size:           8
        .value_kind:     global_buffer
      - .actual_access:  read_only
        .address_space:  global
        .offset:         24
        .size:           8
        .value_kind:     global_buffer
      - .actual_access:  read_only
        .address_space:  global
        .offset:         32
        .size:           8
        .value_kind:     global_buffer
      - .offset:         40
        .size:           8
        .value_kind:     by_value
      - .address_space:  global
        .offset:         48
        .size:           8
        .value_kind:     global_buffer
      - .address_space:  global
        .offset:         56
        .size:           8
        .value_kind:     global_buffer
      - .address_space:  global
        .offset:         64
        .size:           8
        .value_kind:     global_buffer
      - .address_space:  global
        .offset:         72
        .size:           8
        .value_kind:     global_buffer
      - .offset:         80
        .size:           4
        .value_kind:     by_value
      - .address_space:  global
        .offset:         88
        .size:           8
        .value_kind:     global_buffer
      - .address_space:  global
        .offset:         96
        .size:           8
        .value_kind:     global_buffer
    .group_segment_fixed_size: 1936
    .kernarg_segment_align: 8
    .kernarg_segment_size: 104
    .language:       OpenCL C
    .language_version:
      - 2
      - 0
    .max_flat_workgroup_size: 44
    .name:           bluestein_single_fwd_len484_dim1_half_op_CI_CI
    .private_segment_fixed_size: 0
    .sgpr_count:     27
    .sgpr_spill_count: 0
    .symbol:         bluestein_single_fwd_len484_dim1_half_op_CI_CI.kd
    .uniform_work_group_size: 1
    .uses_dynamic_stack: false
    .vgpr_count:     79
    .vgpr_spill_count: 0
    .wavefront_size: 64
amdhsa.target:   amdgcn-amd-amdhsa--gfx906
amdhsa.version:
  - 1
  - 2
...

	.end_amdgpu_metadata
